;; amdgpu-corpus repo=ROCm/rocFFT kind=compiled arch=gfx1100 opt=O3
	.text
	.amdgcn_target "amdgcn-amd-amdhsa--gfx1100"
	.amdhsa_code_object_version 6
	.protected	bluestein_single_back_len663_dim1_dp_op_CI_CI ; -- Begin function bluestein_single_back_len663_dim1_dp_op_CI_CI
	.globl	bluestein_single_back_len663_dim1_dp_op_CI_CI
	.p2align	8
	.type	bluestein_single_back_len663_dim1_dp_op_CI_CI,@function
bluestein_single_back_len663_dim1_dp_op_CI_CI: ; @bluestein_single_back_len663_dim1_dp_op_CI_CI
; %bb.0:
	s_load_b128 s[4:7], s[0:1], 0x28
	v_mul_u32_u24_e32 v1, 0x506, v0
	s_mov_b32 s2, exec_lo
	v_mov_b32_e32 v4, 0
	s_delay_alu instid0(VALU_DEP_2) | instskip(NEXT) | instid1(VALU_DEP_1)
	v_lshrrev_b32_e32 v1, 16, v1
	v_add_nc_u32_e32 v3, s15, v1
	s_delay_alu instid0(VALU_DEP_1)
	v_mov_b32_e32 v2, v3
	scratch_store_b64 off, v[2:3], off offset:4 ; 8-byte Folded Spill
	s_waitcnt lgkmcnt(0)
	v_cmpx_gt_u64_e64 s[4:5], v[3:4]
	s_cbranch_execz .LBB0_23
; %bb.1:
	s_clause 0x1
	s_load_b64 s[12:13], s[0:1], 0x0
	s_load_b64 s[14:15], s[0:1], 0x38
	v_mul_lo_u16 v1, v1, 51
	s_delay_alu instid0(VALU_DEP_1) | instskip(NEXT) | instid1(VALU_DEP_1)
	v_sub_nc_u16 v0, v0, v1
	v_and_b32_e32 v1, 0xffff, v0
	v_cmp_gt_u16_e32 vcc_lo, 39, v0
	s_delay_alu instid0(VALU_DEP_2)
	v_lshlrev_b32_e32 v255, 4, v1
	scratch_store_b32 off, v1, off          ; 4-byte Folded Spill
	s_and_saveexec_b32 s3, vcc_lo
	s_cbranch_execz .LBB0_3
; %bb.2:
	scratch_load_b64 v[0:1], off, off offset:4 ; 8-byte Folded Reload
	s_load_b64 s[4:5], s[0:1], 0x18
	s_waitcnt lgkmcnt(0)
	v_add_co_u32 v31, s2, s12, v255
	s_delay_alu instid0(VALU_DEP_1) | instskip(NEXT) | instid1(VALU_DEP_2)
	v_add_co_ci_u32_e64 v32, null, s13, 0, s2
	v_add_co_u32 v52, s2, 0x1000, v31
	s_delay_alu instid0(VALU_DEP_1) | instskip(SKIP_1) | instid1(VALU_DEP_1)
	v_add_co_ci_u32_e64 v53, s2, 0, v32, s2
	v_add_co_u32 v128, s2, 0x2000, v31
	v_add_co_ci_u32_e64 v129, s2, 0, v32, s2
	s_load_b128 s[8:11], s[4:5], 0x0
	s_waitcnt lgkmcnt(0)
	s_mul_i32 s4, s9, 0x270
	s_mul_hi_u32 s5, s8, 0x270
	s_delay_alu instid0(SALU_CYCLE_1)
	s_add_i32 s5, s5, s4
	s_waitcnt vmcnt(0)
	v_mov_b32_e32 v33, v0
	s_clause 0x1
	global_load_b128 v[0:3], v255, s[12:13]
	global_load_b128 v[4:7], v255, s[12:13] offset:624
	scratch_load_b32 v34, off, off          ; 4-byte Folded Reload
	s_clause 0x4
	global_load_b128 v[8:11], v255, s[12:13] offset:1248
	global_load_b128 v[12:15], v255, s[12:13] offset:1872
	;; [unrolled: 1-line block ×5, first 2 shown]
	v_mad_u64_u32 v[36:37], null, s10, v33, 0
	s_delay_alu instid0(VALU_DEP_1) | instskip(NEXT) | instid1(VALU_DEP_1)
	v_mov_b32_e32 v28, v37
	v_mad_u64_u32 v[29:30], null, s11, v33, v[28:29]
	s_delay_alu instid0(VALU_DEP_1) | instskip(NEXT) | instid1(VALU_DEP_1)
	v_mov_b32_e32 v37, v29
	v_lshlrev_b64 v[46:47], 4, v[36:37]
	s_delay_alu instid0(VALU_DEP_1) | instskip(NEXT) | instid1(VALU_DEP_1)
	v_add_co_u32 v46, s2, s6, v46
	v_add_co_ci_u32_e64 v47, s2, s7, v47, s2
	s_mul_i32 s6, s8, 0x270
	s_waitcnt vmcnt(5)
	v_mad_u64_u32 v[44:45], null, s8, v34, 0
	s_delay_alu instid0(VALU_DEP_1) | instskip(NEXT) | instid1(VALU_DEP_1)
	v_mov_b32_e32 v28, v45
	v_mad_u64_u32 v[38:39], null, s9, v34, v[28:29]
	s_clause 0x1
	global_load_b128 v[28:31], v[52:53], off offset:272
	global_load_b128 v[32:35], v[52:53], off offset:896
	v_mov_b32_e32 v45, v38
	s_clause 0x1
	global_load_b128 v[36:39], v[52:53], off offset:1520
	global_load_b128 v[40:43], v[52:53], off offset:2144
	v_lshlrev_b64 v[44:45], 4, v[44:45]
	s_delay_alu instid0(VALU_DEP_1) | instskip(NEXT) | instid1(VALU_DEP_1)
	v_add_co_u32 v56, s2, v46, v44
	v_add_co_ci_u32_e64 v57, s2, v47, v45, s2
	s_clause 0x1
	global_load_b128 v[44:47], v[52:53], off offset:2768
	global_load_b128 v[48:51], v[52:53], off offset:3392
	v_add_co_u32 v60, s2, v56, s6
	s_delay_alu instid0(VALU_DEP_1) | instskip(SKIP_2) | instid1(VALU_DEP_1)
	v_add_co_ci_u32_e64 v61, s2, s5, v57, s2
	global_load_b128 v[52:55], v[52:53], off offset:4016
	v_add_co_u32 v64, s2, v60, s6
	v_add_co_ci_u32_e64 v65, s2, s5, v61, s2
	s_clause 0x1
	global_load_b128 v[56:59], v[56:57], off
	global_load_b128 v[60:63], v[60:61], off
	v_add_co_u32 v68, s2, v64, s6
	s_delay_alu instid0(VALU_DEP_1) | instskip(NEXT) | instid1(VALU_DEP_2)
	v_add_co_ci_u32_e64 v69, s2, s5, v65, s2
	v_add_co_u32 v72, s2, v68, s6
	s_delay_alu instid0(VALU_DEP_1) | instskip(SKIP_4) | instid1(VALU_DEP_1)
	v_add_co_ci_u32_e64 v73, s2, s5, v69, s2
	s_clause 0x1
	global_load_b128 v[64:67], v[64:65], off
	global_load_b128 v[68:71], v[68:69], off
	v_add_co_u32 v76, s2, v72, s6
	v_add_co_ci_u32_e64 v77, s2, s5, v73, s2
	global_load_b128 v[72:75], v[72:73], off
	v_add_co_u32 v80, s2, v76, s6
	s_delay_alu instid0(VALU_DEP_1) | instskip(SKIP_2) | instid1(VALU_DEP_1)
	v_add_co_ci_u32_e64 v81, s2, s5, v77, s2
	global_load_b128 v[76:79], v[76:77], off
	v_add_co_u32 v84, s2, v80, s6
	v_add_co_ci_u32_e64 v85, s2, s5, v81, s2
	global_load_b128 v[80:83], v[80:81], off
	v_add_co_u32 v88, s2, v84, s6
	s_delay_alu instid0(VALU_DEP_1) | instskip(SKIP_2) | instid1(VALU_DEP_1)
	v_add_co_ci_u32_e64 v89, s2, s5, v85, s2
	;; [unrolled: 7-line block ×5, first 2 shown]
	global_load_b128 v[108:111], v[108:109], off
	v_add_co_u32 v124, s2, v112, s6
	v_add_co_ci_u32_e64 v125, s2, s5, v113, s2
	global_load_b128 v[112:115], v[112:113], off
	v_add_co_u32 v132, s2, v124, s6
	s_delay_alu instid0(VALU_DEP_1)
	v_add_co_ci_u32_e64 v133, s2, s5, v125, s2
	s_clause 0x1
	global_load_b128 v[116:119], v[128:129], off offset:544
	global_load_b128 v[120:123], v[128:129], off offset:1168
	global_load_b128 v[124:127], v[124:125], off
	global_load_b128 v[128:131], v[128:129], off offset:1792
	global_load_b128 v[132:135], v[132:133], off
	s_waitcnt vmcnt(19)
	v_mul_f64 v[136:137], v[58:59], v[2:3]
	v_mul_f64 v[2:3], v[56:57], v[2:3]
	s_waitcnt vmcnt(18)
	v_mul_f64 v[138:139], v[62:63], v[6:7]
	v_mul_f64 v[6:7], v[60:61], v[6:7]
	s_waitcnt vmcnt(17)
	v_mul_f64 v[140:141], v[66:67], v[10:11]
	v_mul_f64 v[10:11], v[64:65], v[10:11]
	s_waitcnt vmcnt(16)
	v_mul_f64 v[142:143], v[70:71], v[14:15]
	v_mul_f64 v[14:15], v[68:69], v[14:15]
	s_waitcnt vmcnt(15)
	v_mul_f64 v[144:145], v[74:75], v[18:19]
	v_mul_f64 v[18:19], v[72:73], v[18:19]
	s_waitcnt vmcnt(14)
	v_mul_f64 v[146:147], v[78:79], v[22:23]
	v_mul_f64 v[22:23], v[76:77], v[22:23]
	s_waitcnt vmcnt(13)
	v_mul_f64 v[148:149], v[82:83], v[26:27]
	v_mul_f64 v[26:27], v[80:81], v[26:27]
	s_waitcnt vmcnt(12)
	v_mul_f64 v[150:151], v[86:87], v[30:31]
	v_mul_f64 v[30:31], v[84:85], v[30:31]
	s_waitcnt vmcnt(11)
	v_mul_f64 v[152:153], v[90:91], v[34:35]
	v_mul_f64 v[34:35], v[88:89], v[34:35]
	s_waitcnt vmcnt(10)
	v_mul_f64 v[154:155], v[94:95], v[38:39]
	v_mul_f64 v[38:39], v[92:93], v[38:39]
	s_waitcnt vmcnt(9)
	v_mul_f64 v[156:157], v[98:99], v[42:43]
	v_mul_f64 v[42:43], v[96:97], v[42:43]
	s_waitcnt vmcnt(8)
	v_mul_f64 v[158:159], v[102:103], v[46:47]
	v_mul_f64 v[46:47], v[100:101], v[46:47]
	s_waitcnt vmcnt(7)
	v_mul_f64 v[160:161], v[106:107], v[50:51]
	v_mul_f64 v[50:51], v[104:105], v[50:51]
	s_waitcnt vmcnt(6)
	v_mul_f64 v[162:163], v[110:111], v[54:55]
	v_mul_f64 v[164:165], v[108:109], v[54:55]
	v_fma_f64 v[54:55], v[56:57], v[0:1], v[136:137]
	v_fma_f64 v[56:57], v[58:59], v[0:1], -v[2:3]
	v_fma_f64 v[0:1], v[60:61], v[4:5], v[138:139]
	v_fma_f64 v[2:3], v[62:63], v[4:5], -v[6:7]
	s_waitcnt vmcnt(4)
	v_mul_f64 v[166:167], v[114:115], v[118:119]
	v_mul_f64 v[118:119], v[112:113], v[118:119]
	s_waitcnt vmcnt(2)
	v_mul_f64 v[168:169], v[126:127], v[122:123]
	v_mul_f64 v[122:123], v[124:125], v[122:123]
	;; [unrolled: 3-line block ×3, first 2 shown]
	v_fma_f64 v[4:5], v[64:65], v[8:9], v[140:141]
	v_fma_f64 v[6:7], v[66:67], v[8:9], -v[10:11]
	v_fma_f64 v[8:9], v[68:69], v[12:13], v[142:143]
	v_fma_f64 v[10:11], v[70:71], v[12:13], -v[14:15]
	;; [unrolled: 2-line block ×15, first 2 shown]
	ds_store_b128 v255, v[54:57]
	ds_store_b128 v255, v[0:3] offset:624
	ds_store_b128 v255, v[4:7] offset:1248
	;; [unrolled: 1-line block ×16, first 2 shown]
.LBB0_3:
	s_or_b32 exec_lo, exec_lo, s3
	s_clause 0x1
	s_load_b64 s[4:5], s[0:1], 0x20
	s_load_b64 s[2:3], s[0:1], 0x8
	s_waitcnt lgkmcnt(0)
	s_waitcnt_vscnt null, 0x0
	s_barrier
	buffer_gl0_inv
                                        ; implicit-def: $vgpr8_vgpr9
                                        ; implicit-def: $vgpr24_vgpr25
                                        ; implicit-def: $vgpr28_vgpr29
                                        ; implicit-def: $vgpr32_vgpr33
                                        ; implicit-def: $vgpr36_vgpr37
                                        ; implicit-def: $vgpr40_vgpr41
                                        ; implicit-def: $vgpr44_vgpr45
                                        ; implicit-def: $vgpr48_vgpr49
                                        ; implicit-def: $vgpr56_vgpr57
                                        ; implicit-def: $vgpr60_vgpr61
                                        ; implicit-def: $vgpr64_vgpr65
                                        ; implicit-def: $vgpr68_vgpr69
                                        ; implicit-def: $vgpr72_vgpr73
                                        ; implicit-def: $vgpr52_vgpr53
                                        ; implicit-def: $vgpr20_vgpr21
                                        ; implicit-def: $vgpr16_vgpr17
                                        ; implicit-def: $vgpr12_vgpr13
	s_and_saveexec_b32 s0, vcc_lo
	s_cbranch_execz .LBB0_5
; %bb.4:
	ds_load_b128 v[8:11], v255
	ds_load_b128 v[24:27], v255 offset:624
	ds_load_b128 v[28:31], v255 offset:1248
	;; [unrolled: 1-line block ×16, first 2 shown]
.LBB0_5:
	s_or_b32 exec_lo, exec_lo, s0
	s_waitcnt lgkmcnt(0)
	v_add_f64 v[171:172], v[26:27], -v[14:15]
	s_mov_b32 s0, 0x5d8e7cdc
	s_mov_b32 s1, 0xbfd71e95
	v_add_f64 v[164:165], v[24:25], v[12:13]
	v_add_f64 v[106:107], v[30:31], -v[18:19]
	s_mov_b32 s6, 0x370991
	s_mov_b32 s8, 0x2a9d6da3
	;; [unrolled: 1-line block ×4, first 2 shown]
	v_add_f64 v[76:77], v[28:29], v[16:17]
	v_add_f64 v[179:180], v[24:25], -v[12:13]
	v_add_f64 v[88:89], v[28:29], -v[16:17]
	s_mov_b32 s10, 0x75d4884
	s_mov_b32 s11, 0x3fe7a5f6
	v_add_f64 v[175:176], v[26:27], v[14:15]
	v_add_f64 v[84:85], v[30:31], v[18:19]
	v_add_f64 v[110:111], v[34:35], -v[22:23]
	s_mov_b32 s18, 0x7c9e640b
	s_mov_b32 s19, 0xbfeca52d
	v_add_f64 v[80:81], v[32:33], v[20:21]
	s_mov_b32 s16, 0x2b2883cd
	s_mov_b32 s17, 0x3fdc86fa
	v_add_f64 v[108:109], v[32:33], -v[20:21]
	v_add_f64 v[94:95], v[34:35], v[22:23]
	v_add_f64 v[122:123], v[38:39], -v[54:55]
	s_mov_b32 s22, 0xeb564b22
	s_mov_b32 s23, 0xbfefdd0d
	v_add_f64 v[90:91], v[36:37], v[52:53]
	s_mov_b32 s20, 0x3259b75e
	s_mov_b32 s21, 0x3fb79ee6
	v_add_f64 v[120:121], v[36:37], -v[52:53]
	v_add_f64 v[112:113], v[38:39], v[54:55]
	v_add_f64 v[150:151], v[42:43], -v[74:75]
	s_mov_b32 s36, 0x923c349f
	s_mov_b32 s37, 0x3feec746
	;; [unrolled: 1-line block ×4, first 2 shown]
	v_add_f64 v[116:117], v[40:41], v[72:73]
	v_mul_f64 v[166:167], v[171:172], s[0:1]
	s_mov_b32 s24, 0xc61f0d01
	s_mov_b32 s25, 0xbfd183b1
	v_add_f64 v[136:137], v[40:41], -v[72:73]
	v_mul_f64 v[2:3], v[106:107], s[8:9]
	v_add_f64 v[128:129], v[42:43], v[74:75]
	v_add_f64 v[160:161], v[46:47], -v[70:71]
	s_mov_b32 s42, 0x6c9a05f6
	s_mov_b32 s43, 0xbfe9895b
	v_add_f64 v[124:125], v[44:45], v[68:69]
	v_mul_f64 v[177:178], v[179:180], s[0:1]
	v_mul_f64 v[4:5], v[88:89], s[8:9]
	s_mov_b32 s26, 0x6ed5f1bb
	s_mov_b32 s27, 0xbfe348c8
	v_add_f64 v[152:153], v[44:45], -v[68:69]
	v_add_f64 v[138:139], v[46:47], v[70:71]
	v_add_f64 v[169:170], v[50:51], -v[66:67]
	s_mov_b32 s40, 0x4363dd80
	s_mov_b32 s41, 0x3fe0d888
	;; [unrolled: 1-line block ×4, first 2 shown]
	v_add_f64 v[132:133], v[48:49], v[64:65]
	v_add_f64 v[158:159], v[48:49], -v[64:65]
	s_mov_b32 s30, 0x910ea3b9
	s_mov_b32 s31, 0xbfeb34fa
	v_add_f64 v[146:147], v[50:51], v[66:67]
	v_add_f64 v[173:174], v[58:59], -v[62:63]
	s_mov_b32 s44, 0xacd6c6b4
	s_mov_b32 s45, 0xbfc7851a
	;; [unrolled: 4-line block ×3, first 2 shown]
	v_add_f64 v[154:155], v[58:59], v[62:63]
	v_mul_f64 v[114:115], v[171:172], s[8:9]
	v_mul_f64 v[181:182], v[106:107], s[22:23]
	v_mul_f64 v[118:119], v[179:180], s[8:9]
	v_mul_f64 v[187:188], v[88:89], s[22:23]
	v_fma_f64 v[0:1], v[164:165], s[6:7], v[166:167]
	v_mul_f64 v[183:184], v[110:111], s[42:43]
	v_mul_f64 v[189:190], v[108:109], s[42:43]
	;; [unrolled: 1-line block ×3, first 2 shown]
	scratch_store_b64 off, v[2:3], off offset:44 ; 8-byte Folded Spill
	v_fma_f64 v[2:3], v[76:77], s[10:11], v[2:3]
	v_mul_f64 v[197:198], v[120:121], s[44:45]
	v_mul_f64 v[195:196], v[150:151], s[40:41]
	;; [unrolled: 1-line block ×4, first 2 shown]
	s_mov_b32 s47, 0x3feca52d
	scratch_store_b64 off, v[4:5], off offset:76 ; 8-byte Folded Spill
	v_fma_f64 v[4:5], v[84:85], s[10:11], -v[4:5]
	s_mov_b32 s46, s18
	v_mul_f64 v[217:218], v[152:153], s[36:37]
	s_mov_b32 s49, 0x3fd71e95
	v_mul_f64 v[191:192], v[169:170], s[46:47]
	;; [unrolled: 2-line block ×3, first 2 shown]
	v_mul_f64 v[193:194], v[106:107], s[42:43]
	v_mul_f64 v[130:131], v[179:180], s[18:19]
	;; [unrolled: 1-line block ×5, first 2 shown]
	s_mov_b32 s51, 0x3fc7851a
	s_mov_b32 s50, s44
	v_mul_f64 v[199:200], v[173:174], s[48:49]
	v_mul_f64 v[203:204], v[110:111], s[50:51]
	;; [unrolled: 1-line block ×7, first 2 shown]
	s_mov_b32 s53, 0x3fe58eea
	s_mov_b32 s52, s8
	v_fma_f64 v[6:7], v[76:77], s[20:21], v[181:182]
	v_mul_f64 v[231:232], v[150:151], s[52:53]
	v_fma_f64 v[78:79], v[84:85], s[20:21], -v[187:188]
	v_add_f64 v[0:1], v[8:9], v[0:1]
	v_mul_f64 v[251:252], v[136:137], s[52:53]
	v_mul_f64 v[247:248], v[160:161], s[0:1]
	;; [unrolled: 1-line block ×15, first 2 shown]
	s_mov_b32 s55, 0x3fe9895b
	s_mov_b32 s54, s42
	v_fma_f64 v[82:83], v[76:77], s[26:27], v[193:194]
	v_mul_f64 v[245:246], v[169:170], s[54:55]
	v_fma_f64 v[86:87], v[84:85], s[26:27], -v[209:210]
	v_add_f64 v[0:1], v[2:3], v[0:1]
	v_fma_f64 v[2:3], v[175:176], s[6:7], -v[177:178]
	s_delay_alu instid0(VALU_DEP_1) | instskip(NEXT) | instid1(VALU_DEP_1)
	v_add_f64 v[2:3], v[10:11], v[2:3]
	v_add_f64 v[2:3], v[4:5], v[2:3]
	v_mul_f64 v[4:5], v[110:111], s[18:19]
	scratch_store_b64 off, v[4:5], off offset:60 ; 8-byte Folded Spill
	v_fma_f64 v[4:5], v[80:81], s[16:17], v[4:5]
	s_delay_alu instid0(VALU_DEP_1) | instskip(SKIP_3) | instid1(VALU_DEP_1)
	v_add_f64 v[0:1], v[4:5], v[0:1]
	v_mul_f64 v[4:5], v[108:109], s[18:19]
	scratch_store_b64 off, v[4:5], off offset:108 ; 8-byte Folded Spill
	v_fma_f64 v[4:5], v[94:95], s[16:17], -v[4:5]
	v_add_f64 v[2:3], v[4:5], v[2:3]
	v_mul_f64 v[4:5], v[122:123], s[22:23]
	scratch_store_b64 off, v[4:5], off offset:92 ; 8-byte Folded Spill
	v_fma_f64 v[4:5], v[90:91], s[20:21], v[4:5]
	s_delay_alu instid0(VALU_DEP_1) | instskip(SKIP_3) | instid1(VALU_DEP_1)
	v_add_f64 v[0:1], v[4:5], v[0:1]
	v_mul_f64 v[4:5], v[120:121], s[22:23]
	scratch_store_b64 off, v[4:5], off offset:124 ; 8-byte Folded Spill
	v_fma_f64 v[4:5], v[112:113], s[20:21], -v[4:5]
	;; [unrolled: 9-line block ×4, first 2 shown]
	v_add_f64 v[2:3], v[4:5], v[2:3]
	v_mul_f64 v[4:5], v[169:170], s[38:39]
	scratch_store_b64 off, v[4:5], off offset:188 ; 8-byte Folded Spill
	v_fma_f64 v[4:5], v[132:133], s[30:31], v[4:5]
	s_delay_alu instid0(VALU_DEP_1) | instskip(SKIP_1) | instid1(VALU_DEP_1)
	v_add_f64 v[0:1], v[4:5], v[0:1]
	v_fma_f64 v[4:5], v[146:147], s[30:31], -v[148:149]
	v_add_f64 v[2:3], v[4:5], v[2:3]
	v_mul_f64 v[4:5], v[173:174], s[44:45]
	scratch_store_b64 off, v[4:5], off offset:220 ; 8-byte Folded Spill
	v_fma_f64 v[4:5], v[142:143], s[34:35], v[4:5]
	s_delay_alu instid0(VALU_DEP_1) | instskip(SKIP_1) | instid1(VALU_DEP_1)
	v_add_f64 v[0:1], v[4:5], v[0:1]
	v_fma_f64 v[4:5], v[154:155], s[34:35], -v[156:157]
	v_add_f64 v[2:3], v[4:5], v[2:3]
	v_fma_f64 v[4:5], v[164:165], s[10:11], v[114:115]
	scratch_store_b128 off, v[0:3], off offset:12 ; 16-byte Folded Spill
	v_add_f64 v[4:5], v[8:9], v[4:5]
	s_delay_alu instid0(VALU_DEP_1) | instskip(SKIP_1) | instid1(VALU_DEP_1)
	v_add_f64 v[4:5], v[6:7], v[4:5]
	v_fma_f64 v[6:7], v[175:176], s[10:11], -v[118:119]
	v_add_f64 v[6:7], v[10:11], v[6:7]
	s_delay_alu instid0(VALU_DEP_1) | instskip(SKIP_1) | instid1(VALU_DEP_1)
	v_add_f64 v[6:7], v[78:79], v[6:7]
	v_fma_f64 v[78:79], v[80:81], s[26:27], v[183:184]
	v_add_f64 v[4:5], v[78:79], v[4:5]
	v_fma_f64 v[78:79], v[94:95], s[26:27], -v[189:190]
	s_delay_alu instid0(VALU_DEP_1) | instskip(SKIP_1) | instid1(VALU_DEP_1)
	v_add_f64 v[6:7], v[78:79], v[6:7]
	v_fma_f64 v[78:79], v[90:91], s[34:35], v[185:186]
	v_add_f64 v[4:5], v[78:79], v[4:5]
	v_fma_f64 v[78:79], v[112:113], s[34:35], -v[197:198]
	;; [unrolled: 5-line block ×6, first 2 shown]
	s_delay_alu instid0(VALU_DEP_1)
	v_add_f64 v[2:3], v[78:79], v[6:7]
	v_fma_f64 v[78:79], v[164:165], s[16:17], v[126:127]
	scratch_store_b128 off, v[0:3], off offset:28 ; 16-byte Folded Spill
	v_add_f64 v[78:79], v[8:9], v[78:79]
	s_waitcnt_vscnt null, 0x0
	s_barrier
	buffer_gl0_inv
	v_add_f64 v[78:79], v[82:83], v[78:79]
	v_fma_f64 v[82:83], v[175:176], s[16:17], -v[130:131]
	s_delay_alu instid0(VALU_DEP_1) | instskip(NEXT) | instid1(VALU_DEP_1)
	v_add_f64 v[82:83], v[10:11], v[82:83]
	v_add_f64 v[82:83], v[86:87], v[82:83]
	v_fma_f64 v[86:87], v[80:81], s[34:35], v[203:204]
	s_delay_alu instid0(VALU_DEP_1) | instskip(SKIP_1) | instid1(VALU_DEP_1)
	v_add_f64 v[78:79], v[86:87], v[78:79]
	v_fma_f64 v[86:87], v[94:95], s[34:35], -v[219:220]
	v_add_f64 v[82:83], v[86:87], v[82:83]
	v_fma_f64 v[86:87], v[90:91], s[24:25], v[205:206]
	s_delay_alu instid0(VALU_DEP_1) | instskip(SKIP_1) | instid1(VALU_DEP_1)
	v_add_f64 v[78:79], v[86:87], v[78:79]
	v_fma_f64 v[86:87], v[112:113], s[24:25], -v[235:236]
	;; [unrolled: 5-line block ×3, first 2 shown]
	v_add_f64 v[82:83], v[86:87], v[82:83]
	v_fma_f64 v[86:87], v[124:125], s[6:7], v[247:248]
	s_delay_alu instid0(VALU_DEP_1) | instskip(SKIP_1) | instid1(VALU_DEP_1)
	v_add_f64 v[78:79], v[86:87], v[78:79]
	v_mul_f64 v[86:87], v[152:153], s[0:1]
	v_fma_f64 v[92:93], v[138:139], s[6:7], -v[86:87]
	s_delay_alu instid0(VALU_DEP_1) | instskip(SKIP_1) | instid1(VALU_DEP_1)
	v_add_f64 v[82:83], v[92:93], v[82:83]
	v_fma_f64 v[92:93], v[132:133], s[20:21], v[233:234]
	v_add_f64 v[78:79], v[92:93], v[78:79]
	v_fma_f64 v[92:93], v[146:147], s[20:21], -v[241:242]
	s_delay_alu instid0(VALU_DEP_1) | instskip(SKIP_1) | instid1(VALU_DEP_1)
	v_add_f64 v[82:83], v[92:93], v[82:83]
	v_fma_f64 v[92:93], v[142:143], s[30:31], v[227:228]
	v_add_f64 v[96:97], v[92:93], v[78:79]
	v_fma_f64 v[78:79], v[154:155], s[30:31], -v[239:240]
	v_fma_f64 v[92:93], v[84:85], s[34:35], -v[225:226]
	s_delay_alu instid0(VALU_DEP_2) | instskip(SKIP_2) | instid1(VALU_DEP_2)
	v_add_f64 v[98:99], v[78:79], v[82:83]
	v_fma_f64 v[78:79], v[164:165], s[20:21], v[134:135]
	v_fma_f64 v[82:83], v[76:77], s[34:35], v[213:214]
	v_add_f64 v[78:79], v[8:9], v[78:79]
	s_delay_alu instid0(VALU_DEP_1) | instskip(SKIP_1) | instid1(VALU_DEP_1)
	v_add_f64 v[78:79], v[82:83], v[78:79]
	v_fma_f64 v[82:83], v[175:176], s[20:21], -v[140:141]
	v_add_f64 v[82:83], v[10:11], v[82:83]
	s_delay_alu instid0(VALU_DEP_1) | instskip(SKIP_1) | instid1(VALU_DEP_1)
	v_add_f64 v[82:83], v[92:93], v[82:83]
	v_fma_f64 v[92:93], v[80:81], s[24:25], v[221:222]
	v_add_f64 v[78:79], v[92:93], v[78:79]
	v_fma_f64 v[92:93], v[94:95], s[24:25], -v[237:238]
	s_delay_alu instid0(VALU_DEP_1) | instskip(SKIP_1) | instid1(VALU_DEP_1)
	v_add_f64 v[82:83], v[92:93], v[82:83]
	v_fma_f64 v[92:93], v[90:91], s[6:7], v[223:224]
	v_add_f64 v[78:79], v[92:93], v[78:79]
	v_fma_f64 v[92:93], v[112:113], s[6:7], -v[249:250]
	s_delay_alu instid0(VALU_DEP_1) | instskip(SKIP_1) | instid1(VALU_DEP_1)
	v_add_f64 v[92:93], v[92:93], v[82:83]
	v_fma_f64 v[82:83], v[116:117], s[16:17], v[229:230]
	v_add_f64 v[100:101], v[82:83], v[78:79]
	v_mul_f64 v[82:83], v[136:137], s[18:19]
	s_delay_alu instid0(VALU_DEP_1) | instskip(NEXT) | instid1(VALU_DEP_1)
	v_fma_f64 v[78:79], v[128:129], s[16:17], -v[82:83]
	v_add_f64 v[102:103], v[78:79], v[92:93]
	v_mul_f64 v[78:79], v[160:161], s[38:39]
	s_delay_alu instid0(VALU_DEP_1) | instskip(NEXT) | instid1(VALU_DEP_1)
	v_fma_f64 v[92:93], v[124:125], s[30:31], v[78:79]
	v_add_f64 v[100:101], v[92:93], v[100:101]
	v_mul_f64 v[92:93], v[152:153], s[38:39]
	s_delay_alu instid0(VALU_DEP_1) | instskip(NEXT) | instid1(VALU_DEP_1)
	v_fma_f64 v[104:105], v[138:139], s[30:31], -v[92:93]
	v_add_f64 v[102:103], v[104:105], v[102:103]
	v_fma_f64 v[104:105], v[132:133], s[26:27], v[245:246]
	s_delay_alu instid0(VALU_DEP_1) | instskip(SKIP_1) | instid1(VALU_DEP_1)
	v_add_f64 v[100:101], v[104:105], v[100:101]
	v_mul_f64 v[104:105], v[158:159], s[54:55]
	v_fma_f64 v[243:244], v[146:147], s[26:27], -v[104:105]
	s_delay_alu instid0(VALU_DEP_1) | instskip(SKIP_1) | instid1(VALU_DEP_1)
	v_add_f64 v[102:103], v[243:244], v[102:103]
	v_mul_f64 v[243:244], v[173:174], s[52:53]
	v_fma_f64 v[253:254], v[142:143], s[10:11], v[243:244]
	s_delay_alu instid0(VALU_DEP_1) | instskip(SKIP_1) | instid1(VALU_DEP_1)
	v_add_f64 v[100:101], v[253:254], v[100:101]
	v_mul_f64 v[253:254], v[162:163], s[52:53]
	v_fma_f64 v[144:145], v[154:155], s[10:11], -v[253:254]
	s_delay_alu instid0(VALU_DEP_1)
	v_add_f64 v[102:103], v[144:145], v[102:103]
	s_and_saveexec_b32 s33, vcc_lo
	s_cbranch_execz .LBB0_7
; %bb.6:
	v_add_f64 v[24:25], v[8:9], v[24:25]
	v_add_f64 v[26:27], v[10:11], v[26:27]
	s_mov_b32 s57, 0x3fefdd0d
	s_mov_b32 s56, s22
	scratch_load_b64 v[0:1], off, off offset:204 ; 8-byte Folded Reload
	v_mul_f64 v[144:145], v[173:174], s[56:57]
	v_add_f64 v[24:25], v[24:25], v[28:29]
	v_add_f64 v[26:27], v[26:27], v[30:31]
	v_mul_f64 v[28:29], v[175:176], s[24:25]
	s_delay_alu instid0(VALU_DEP_3) | instskip(NEXT) | instid1(VALU_DEP_3)
	v_add_f64 v[24:25], v[24:25], v[32:33]
	v_add_f64 v[26:27], v[26:27], v[34:35]
	v_mul_f64 v[34:35], v[164:165], s[20:21]
	s_delay_alu instid0(VALU_DEP_4)
	v_fma_f64 v[30:31], v[179:180], s[36:37], v[28:29]
	v_fma_f64 v[28:29], v[179:180], s[28:29], v[28:29]
	v_mul_f64 v[32:33], v[175:176], s[20:21]
	v_add_f64 v[24:25], v[24:25], v[36:37]
	v_add_f64 v[26:27], v[26:27], v[38:39]
	v_mul_f64 v[36:37], v[175:176], s[16:17]
	v_mul_f64 v[38:39], v[164:165], s[16:17]
	v_add_f64 v[34:35], v[34:35], -v[134:135]
	v_add_f64 v[32:33], v[140:141], v[32:33]
	v_mul_f64 v[140:141], v[154:155], s[20:21]
	v_add_f64 v[24:25], v[24:25], v[40:41]
	v_add_f64 v[26:27], v[26:27], v[42:43]
	v_mul_f64 v[42:43], v[164:165], s[10:11]
	v_add_f64 v[36:37], v[130:131], v[36:37]
	v_add_f64 v[38:39], v[38:39], -v[126:127]
	v_mul_f64 v[40:41], v[175:176], s[10:11]
	v_add_f64 v[34:35], v[8:9], v[34:35]
	v_add_f64 v[32:33], v[10:11], v[32:33]
	;; [unrolled: 1-line block ×4, first 2 shown]
	v_mul_f64 v[46:47], v[171:172], s[44:45]
	v_add_f64 v[42:43], v[42:43], -v[114:115]
	v_mul_f64 v[44:45], v[175:176], s[6:7]
	v_add_f64 v[40:41], v[118:119], v[40:41]
	v_add_f64 v[24:25], v[24:25], v[48:49]
	;; [unrolled: 1-line block ×3, first 2 shown]
	v_mul_f64 v[48:49], v[171:172], s[38:39]
	v_mul_f64 v[50:51], v[171:172], s[42:43]
	v_add_f64 v[44:45], v[177:178], v[44:45]
	v_mul_f64 v[177:178], v[124:125], s[24:25]
	v_add_f64 v[24:25], v[24:25], v[56:57]
	v_add_f64 v[26:27], v[26:27], v[58:59]
	v_fma_f64 v[56:57], v[164:165], s[30:31], v[48:49]
	v_fma_f64 v[48:49], v[164:165], s[30:31], -v[48:49]
	v_fma_f64 v[58:59], v[164:165], s[26:27], v[50:51]
	v_fma_f64 v[50:51], v[164:165], s[26:27], -v[50:51]
	v_add_f64 v[177:178], v[177:178], -v[201:202]
	v_add_f64 v[24:25], v[24:25], v[60:61]
	v_add_f64 v[26:27], v[26:27], v[62:63]
	v_mul_f64 v[62:63], v[164:165], s[6:7]
	v_add_f64 v[56:57], v[8:9], v[56:57]
	v_add_f64 v[48:49], v[8:9], v[48:49]
	;; [unrolled: 1-line block ×6, first 2 shown]
	v_add_f64 v[62:63], v[62:63], -v[166:167]
	v_mul_f64 v[166:167], v[154:155], s[24:25]
	s_delay_alu instid0(VALU_DEP_4) | instskip(NEXT) | instid1(VALU_DEP_4)
	v_add_f64 v[24:25], v[24:25], v[68:69]
	v_add_f64 v[26:27], v[26:27], v[70:71]
	v_add_f64 v[70:71], v[10:11], v[30:31]
	v_add_f64 v[30:31], v[8:9], v[38:39]
	v_add_f64 v[62:63], v[8:9], v[62:63]
	v_add_f64 v[24:25], v[24:25], v[72:73]
	v_add_f64 v[26:27], v[26:27], v[74:75]
	v_add_f64 v[72:73], v[10:11], v[28:29]
	v_add_f64 v[28:29], v[10:11], v[36:37]
	v_mul_f64 v[36:37], v[94:95], s[30:31]
	v_add_f64 v[74:75], v[10:11], v[44:45]
	v_add_f64 v[24:25], v[24:25], v[52:53]
	v_add_f64 v[26:27], v[26:27], v[54:55]
	v_mul_f64 v[52:53], v[171:172], s[28:29]
	v_fma_f64 v[54:55], v[164:165], s[34:35], v[46:47]
	v_fma_f64 v[46:47], v[164:165], s[34:35], -v[46:47]
	v_fma_f64 v[38:39], v[108:109], s[40:41], v[36:37]
	v_mul_f64 v[171:172], v[173:174], s[28:29]
	v_add_f64 v[20:21], v[24:25], v[20:21]
	v_add_f64 v[22:23], v[26:27], v[22:23]
	v_mul_f64 v[24:25], v[175:176], s[26:27]
	v_fma_f64 v[60:61], v[164:165], s[24:25], v[52:53]
	v_fma_f64 v[52:53], v[164:165], s[24:25], -v[52:53]
	v_add_f64 v[54:55], v[8:9], v[54:55]
	v_add_f64 v[46:47], v[8:9], v[46:47]
	v_mul_f64 v[164:165], v[169:170], s[52:53]
	v_add_f64 v[16:17], v[20:21], v[16:17]
	v_mul_f64 v[20:21], v[175:176], s[30:31]
	v_add_f64 v[18:19], v[22:23], v[18:19]
	v_fma_f64 v[26:27], v[179:180], s[54:55], v[24:25]
	v_add_f64 v[60:61], v[8:9], v[60:61]
	v_add_f64 v[52:53], v[8:9], v[52:53]
	v_fma_f64 v[24:25], v[179:180], s[42:43], v[24:25]
	v_add_f64 v[12:13], v[16:17], v[12:13]
	v_mul_f64 v[16:17], v[175:176], s[34:35]
	v_fma_f64 v[22:23], v[179:180], s[40:41], v[20:21]
	v_fma_f64 v[20:21], v[179:180], s[38:39], v[20:21]
	v_add_f64 v[14:15], v[18:19], v[14:15]
	v_add_f64 v[66:67], v[10:11], v[26:27]
	;; [unrolled: 1-line block ×5, first 2 shown]
	v_mul_f64 v[175:176], v[84:85], s[20:21]
	v_fma_f64 v[18:19], v[179:180], s[50:51], v[16:17]
	v_fma_f64 v[16:17], v[179:180], s[44:45], v[16:17]
	v_add_f64 v[64:65], v[10:11], v[20:21]
	v_mul_f64 v[20:21], v[84:85], s[6:7]
	v_add_f64 v[22:23], v[10:11], v[22:23]
	v_mul_f64 v[179:180], v[116:117], s[30:31]
	;; [unrolled: 2-line block ×3, first 2 shown]
	v_add_f64 v[18:19], v[10:11], v[18:19]
	v_add_f64 v[16:17], v[10:11], v[16:17]
	v_fma_f64 v[8:9], v[88:89], s[0:1], v[20:21]
	v_fma_f64 v[20:21], v[88:89], s[48:49], v[20:21]
	v_add_f64 v[179:180], v[179:180], -v[195:196]
	v_add_f64 v[24:25], v[175:176], v[24:25]
	v_add_f64 v[181:182], v[187:188], -v[181:182]
	v_mul_f64 v[187:188], v[80:81], s[26:27]
	v_mul_f64 v[175:176], v[90:91], s[34:35]
	v_add_f64 v[8:9], v[8:9], v[18:19]
	v_mul_f64 v[18:19], v[106:107], s[48:49]
	v_add_f64 v[16:17], v[20:21], v[16:17]
	v_fma_f64 v[20:21], v[108:109], s[38:39], v[36:37]
	v_fma_f64 v[36:37], v[142:143], s[20:21], -v[144:145]
	v_add_f64 v[26:27], v[181:182], v[26:27]
	v_add_f64 v[183:184], v[187:188], -v[183:184]
	v_add_f64 v[175:176], v[175:176], -v[185:186]
	v_mul_f64 v[181:182], v[80:81], s[34:35]
	v_mul_f64 v[185:186], v[154:155], s[26:27]
	;; [unrolled: 1-line block ×4, first 2 shown]
	v_add_f64 v[8:9], v[38:39], v[8:9]
	v_fma_f64 v[10:11], v[76:77], s[6:7], v[18:19]
	v_mul_f64 v[38:39], v[110:111], s[38:39]
	v_fma_f64 v[18:19], v[76:77], s[6:7], -v[18:19]
	v_add_f64 v[16:17], v[20:21], v[16:17]
	v_add_f64 v[26:27], v[183:184], v[26:27]
	v_mul_f64 v[183:184], v[169:170], s[0:1]
	v_add_f64 v[181:182], v[181:182], -v[203:204]
	v_add_f64 v[10:11], v[10:11], v[54:55]
	v_fma_f64 v[40:41], v[80:81], s[30:31], v[38:39]
	v_add_f64 v[18:19], v[18:19], v[46:47]
	v_fma_f64 v[20:21], v[80:81], s[30:31], -v[38:39]
	v_mul_f64 v[46:47], v[106:107], s[46:47]
	v_mul_f64 v[38:39], v[128:129], s[30:31]
	v_add_f64 v[26:27], v[175:176], v[26:27]
	v_mul_f64 v[175:176], v[124:125], s[6:7]
	v_add_f64 v[10:11], v[40:41], v[10:11]
	;; [unrolled: 2-line block ×3, first 2 shown]
	v_add_f64 v[38:39], v[211:212], v[38:39]
	v_add_f64 v[26:27], v[179:180], v[26:27]
	v_mul_f64 v[179:180], v[76:77], s[26:27]
	v_add_f64 v[175:176], v[175:176], -v[247:248]
	v_fma_f64 v[42:43], v[120:121], s[8:9], v[40:41]
	v_fma_f64 v[20:21], v[120:121], s[52:53], v[40:41]
	v_mul_f64 v[40:41], v[112:113], s[34:35]
	v_add_f64 v[26:27], v[177:178], v[26:27]
	v_add_f64 v[179:180], v[179:180], -v[193:194]
	v_mul_f64 v[177:178], v[116:117], s[10:11]
	v_add_f64 v[8:9], v[42:43], v[8:9]
	v_mul_f64 v[42:43], v[122:123], s[52:53]
	v_add_f64 v[16:17], v[20:21], v[16:17]
	v_add_f64 v[40:41], v[197:198], v[40:41]
	;; [unrolled: 1-line block ×3, first 2 shown]
	v_add_f64 v[177:178], v[177:178], -v[231:232]
	v_mul_f64 v[179:180], v[160:161], s[56:57]
	v_fma_f64 v[44:45], v[90:91], s[10:11], v[42:43]
	v_fma_f64 v[20:21], v[90:91], s[10:11], -v[42:43]
	v_mul_f64 v[42:43], v[94:95], s[26:27]
	v_add_f64 v[30:31], v[181:182], v[30:31]
	v_mul_f64 v[181:182], v[146:147], s[6:7]
	v_add_f64 v[10:11], v[44:45], v[10:11]
	;; [unrolled: 2-line block ×3, first 2 shown]
	v_add_f64 v[42:43], v[189:190], v[42:43]
	v_mul_f64 v[189:190], v[84:85], s[24:25]
	s_delay_alu instid0(VALU_DEP_4)
	v_fma_f64 v[54:55], v[136:137], s[54:55], v[44:45]
	v_fma_f64 v[20:21], v[136:137], s[42:43], v[44:45]
	v_mul_f64 v[44:45], v[84:85], s[16:17]
	v_add_f64 v[24:25], v[42:43], v[24:25]
	v_mul_f64 v[42:43], v[146:147], s[16:17]
	v_add_f64 v[8:9], v[54:55], v[8:9]
	;; [unrolled: 2-line block ×3, first 2 shown]
	v_add_f64 v[24:25], v[40:41], v[24:25]
	v_mul_f64 v[40:41], v[132:133], s[16:17]
	v_add_f64 v[42:43], v[207:208], v[42:43]
	v_fma_f64 v[114:115], v[116:117], s[26:27], v[54:55]
	v_fma_f64 v[20:21], v[116:117], s[26:27], -v[54:55]
	v_mul_f64 v[54:55], v[94:95], s[20:21]
	v_add_f64 v[24:25], v[38:39], v[24:25]
	v_add_f64 v[40:41], v[40:41], -v[191:192]
	v_mul_f64 v[38:39], v[154:155], s[6:7]
	v_add_f64 v[10:11], v[114:115], v[10:11]
	v_mul_f64 v[114:115], v[138:139], s[16:17]
	v_add_f64 v[18:19], v[20:21], v[18:19]
	v_add_f64 v[40:41], v[40:41], v[26:27]
	;; [unrolled: 1-line block ×3, first 2 shown]
	s_delay_alu instid0(VALU_DEP_4) | instskip(SKIP_2) | instid1(VALU_DEP_3)
	v_fma_f64 v[118:119], v[152:153], s[18:19], v[114:115]
	v_fma_f64 v[20:21], v[152:153], s[46:47], v[114:115]
	v_mul_f64 v[114:115], v[112:113], s[26:27]
	v_add_f64 v[8:9], v[118:119], v[8:9]
	v_mul_f64 v[118:119], v[160:161], s[46:47]
	s_delay_alu instid0(VALU_DEP_4) | instskip(NEXT) | instid1(VALU_DEP_2)
	v_add_f64 v[16:17], v[20:21], v[16:17]
	v_fma_f64 v[126:127], v[124:125], s[16:17], v[118:119]
	v_fma_f64 v[20:21], v[124:125], s[16:17], -v[118:119]
	v_mul_f64 v[118:119], v[122:123], s[54:55]
	s_delay_alu instid0(VALU_DEP_3) | instskip(SKIP_1) | instid1(VALU_DEP_4)
	v_add_f64 v[10:11], v[126:127], v[10:11]
	v_mul_f64 v[126:127], v[146:147], s[24:25]
	v_add_f64 v[18:19], v[20:21], v[18:19]
	s_delay_alu instid0(VALU_DEP_2) | instskip(SKIP_2) | instid1(VALU_DEP_3)
	v_fma_f64 v[130:131], v[158:159], s[36:37], v[126:127]
	v_fma_f64 v[20:21], v[158:159], s[28:29], v[126:127]
	v_mul_f64 v[126:127], v[128:129], s[6:7]
	v_add_f64 v[8:9], v[130:131], v[8:9]
	v_mul_f64 v[130:131], v[169:170], s[28:29]
	s_delay_alu instid0(VALU_DEP_4) | instskip(SKIP_1) | instid1(VALU_DEP_3)
	v_add_f64 v[16:17], v[20:21], v[16:17]
	v_mul_f64 v[168:169], v[169:170], s[44:45]
	v_fma_f64 v[20:21], v[132:133], s[24:25], -v[130:131]
	v_fma_f64 v[134:135], v[132:133], s[24:25], v[130:131]
	v_mul_f64 v[130:131], v[150:151], s[0:1]
	s_delay_alu instid0(VALU_DEP_3) | instskip(SKIP_1) | instid1(VALU_DEP_4)
	v_add_f64 v[20:21], v[20:21], v[18:19]
	v_fma_f64 v[18:19], v[162:163], s[56:57], v[140:141]
	v_add_f64 v[134:135], v[134:135], v[10:11]
	v_fma_f64 v[10:11], v[162:163], s[22:23], v[140:141]
	v_mul_f64 v[140:141], v[160:161], s[44:45]
	v_mul_f64 v[160:161], v[160:161], s[8:9]
	v_add_f64 v[18:19], v[18:19], v[16:17]
	v_add_f64 v[16:17], v[36:37], v[20:21]
	v_fma_f64 v[20:21], v[88:89], s[18:19], v[44:45]
	v_fma_f64 v[36:37], v[108:109], s[56:57], v[54:55]
	v_add_f64 v[10:11], v[10:11], v[8:9]
	v_fma_f64 v[8:9], v[142:143], s[20:21], v[144:145]
	v_mul_f64 v[144:145], v[146:147], s[10:11]
	v_fma_f64 v[44:45], v[88:89], s[46:47], v[44:45]
	v_add_f64 v[20:21], v[20:21], v[22:23]
	v_fma_f64 v[22:23], v[76:77], s[16:17], v[46:47]
	v_fma_f64 v[46:47], v[76:77], s[16:17], -v[46:47]
	v_add_f64 v[8:9], v[8:9], v[134:135]
	v_mul_f64 v[134:135], v[138:139], s[34:35]
	v_add_f64 v[44:45], v[44:45], v[64:65]
	v_add_f64 v[20:21], v[36:37], v[20:21]
	;; [unrolled: 1-line block ×3, first 2 shown]
	v_mul_f64 v[56:57], v[110:111], s[22:23]
	v_add_f64 v[46:47], v[46:47], v[48:49]
	v_fma_f64 v[48:49], v[108:109], s[22:23], v[54:55]
	v_fma_f64 v[54:55], v[142:143], s[24:25], -v[171:172]
	s_delay_alu instid0(VALU_DEP_4) | instskip(NEXT) | instid1(VALU_DEP_3)
	v_fma_f64 v[36:37], v[80:81], s[20:21], v[56:57]
	v_add_f64 v[44:45], v[48:49], v[44:45]
	v_fma_f64 v[48:49], v[80:81], s[20:21], -v[56:57]
	v_fma_f64 v[56:57], v[142:143], s[16:17], v[173:174]
	s_delay_alu instid0(VALU_DEP_4) | instskip(SKIP_1) | instid1(VALU_DEP_4)
	v_add_f64 v[22:23], v[36:37], v[22:23]
	v_fma_f64 v[36:37], v[120:121], s[42:43], v[114:115]
	v_add_f64 v[46:47], v[48:49], v[46:47]
	v_fma_f64 v[48:49], v[120:121], s[54:55], v[114:115]
	s_delay_alu instid0(VALU_DEP_3) | instskip(SKIP_1) | instid1(VALU_DEP_3)
	v_add_f64 v[20:21], v[36:37], v[20:21]
	v_fma_f64 v[36:37], v[90:91], s[26:27], v[118:119]
	v_add_f64 v[44:45], v[48:49], v[44:45]
	v_fma_f64 v[48:49], v[90:91], s[26:27], -v[118:119]
	s_delay_alu instid0(VALU_DEP_3) | instskip(SKIP_1) | instid1(VALU_DEP_3)
	v_add_f64 v[22:23], v[36:37], v[22:23]
	v_fma_f64 v[36:37], v[136:137], s[48:49], v[126:127]
	v_add_f64 v[46:47], v[48:49], v[46:47]
	v_fma_f64 v[48:49], v[136:137], s[0:1], v[126:127]
	s_delay_alu instid0(VALU_DEP_3) | instskip(SKIP_1) | instid1(VALU_DEP_3)
	v_add_f64 v[20:21], v[36:37], v[20:21]
	v_fma_f64 v[36:37], v[116:117], s[6:7], v[130:131]
	v_add_f64 v[44:45], v[48:49], v[44:45]
	v_fma_f64 v[48:49], v[116:117], s[6:7], -v[130:131]
	s_delay_alu instid0(VALU_DEP_3) | instskip(SKIP_1) | instid1(VALU_DEP_3)
	;; [unrolled: 10-line block ×4, first 2 shown]
	v_add_f64 v[36:37], v[36:37], v[22:23]
	v_fma_f64 v[22:23], v[162:163], s[36:37], v[166:167]
	v_add_f64 v[48:49], v[48:49], v[46:47]
	v_fma_f64 v[46:47], v[162:163], s[28:29], v[166:167]
	s_delay_alu instid0(VALU_DEP_3) | instskip(SKIP_1) | instid1(VALU_DEP_3)
	v_add_f64 v[22:23], v[22:23], v[20:21]
	v_fma_f64 v[20:21], v[142:143], s[24:25], v[171:172]
	v_add_f64 v[46:47], v[46:47], v[44:45]
	v_add_f64 v[44:45], v[54:55], v[48:49]
	v_fma_f64 v[48:49], v[88:89], s[28:29], v[189:190]
	s_delay_alu instid0(VALU_DEP_4) | instskip(SKIP_1) | instid1(VALU_DEP_3)
	v_add_f64 v[20:21], v[20:21], v[36:37]
	v_mul_f64 v[36:37], v[138:139], s[24:25]
	v_add_f64 v[48:49], v[48:49], v[66:67]
	s_delay_alu instid0(VALU_DEP_2) | instskip(NEXT) | instid1(VALU_DEP_1)
	v_add_f64 v[36:37], v[217:218], v[36:37]
	v_add_f64 v[24:25], v[36:37], v[24:25]
	v_mul_f64 v[36:37], v[142:143], s[6:7]
	s_delay_alu instid0(VALU_DEP_2) | instskip(NEXT) | instid1(VALU_DEP_2)
	v_add_f64 v[24:25], v[42:43], v[24:25]
	v_add_f64 v[36:37], v[36:37], -v[199:200]
	v_mul_f64 v[42:43], v[94:95], s[34:35]
	v_mul_f64 v[199:200], v[154:155], s[16:17]
	s_delay_alu instid0(VALU_DEP_4) | instskip(NEXT) | instid1(VALU_DEP_4)
	v_add_f64 v[26:27], v[38:39], v[24:25]
	v_add_f64 v[24:25], v[36:37], v[40:41]
	v_mul_f64 v[36:37], v[138:139], s[6:7]
	v_mul_f64 v[40:41], v[112:113], s[24:25]
	v_add_f64 v[42:43], v[219:220], v[42:43]
	v_mul_f64 v[38:39], v[128:129], s[10:11]
	s_delay_alu instid0(VALU_DEP_4) | instskip(SKIP_2) | instid1(VALU_DEP_4)
	v_add_f64 v[36:37], v[86:87], v[36:37]
	v_mul_f64 v[86:87], v[84:85], s[26:27]
	v_add_f64 v[40:41], v[235:236], v[40:41]
	v_add_f64 v[38:39], v[251:252], v[38:39]
	s_delay_alu instid0(VALU_DEP_3) | instskip(NEXT) | instid1(VALU_DEP_1)
	v_add_f64 v[86:87], v[209:210], v[86:87]
	v_add_f64 v[28:29], v[86:87], v[28:29]
	v_mul_f64 v[86:87], v[90:91], s[24:25]
	s_delay_alu instid0(VALU_DEP_2) | instskip(NEXT) | instid1(VALU_DEP_2)
	v_add_f64 v[28:29], v[42:43], v[28:29]
	v_add_f64 v[86:87], v[86:87], -v[205:206]
	v_mul_f64 v[42:43], v[146:147], s[20:21]
	s_delay_alu instid0(VALU_DEP_3) | instskip(NEXT) | instid1(VALU_DEP_3)
	v_add_f64 v[28:29], v[40:41], v[28:29]
	v_add_f64 v[30:31], v[86:87], v[30:31]
	s_delay_alu instid0(VALU_DEP_3)
	v_add_f64 v[42:43], v[241:242], v[42:43]
	v_mul_f64 v[40:41], v[132:133], s[20:21]
	v_mul_f64 v[86:87], v[84:85], s[34:35]
	v_add_f64 v[28:29], v[38:39], v[28:29]
	v_add_f64 v[30:31], v[177:178], v[30:31]
	v_mul_f64 v[38:39], v[154:155], s[30:31]
	v_add_f64 v[40:41], v[40:41], -v[233:234]
	v_add_f64 v[86:87], v[225:226], v[86:87]
	v_mul_f64 v[177:178], v[138:139], s[20:21]
	v_add_f64 v[28:29], v[36:37], v[28:29]
	v_add_f64 v[30:31], v[175:176], v[30:31]
	;; [unrolled: 1-line block ×3, first 2 shown]
	v_mul_f64 v[36:37], v[142:143], s[30:31]
	v_add_f64 v[32:33], v[86:87], v[32:33]
	v_mul_f64 v[86:87], v[90:91], s[6:7]
	v_mul_f64 v[175:176], v[150:151], s[44:45]
	;; [unrolled: 1-line block ×3, first 2 shown]
	v_add_f64 v[28:29], v[42:43], v[28:29]
	v_add_f64 v[40:41], v[40:41], v[30:31]
	v_mul_f64 v[42:43], v[112:113], s[6:7]
	v_add_f64 v[36:37], v[36:37], -v[227:228]
	v_add_f64 v[86:87], v[86:87], -v[223:224]
	v_add_f64 v[30:31], v[38:39], v[28:29]
	v_mul_f64 v[38:39], v[138:139], s[30:31]
	v_add_f64 v[42:43], v[249:250], v[42:43]
	v_add_f64 v[28:29], v[36:37], v[40:41]
	v_mul_f64 v[36:37], v[146:147], s[26:27]
	v_mul_f64 v[40:41], v[128:129], s[16:17]
	v_add_f64 v[38:39], v[92:93], v[38:39]
	v_mul_f64 v[92:93], v[124:125], s[30:31]
	s_delay_alu instid0(VALU_DEP_4) | instskip(NEXT) | instid1(VALU_DEP_4)
	v_add_f64 v[36:37], v[104:105], v[36:37]
	v_add_f64 v[40:41], v[82:83], v[40:41]
	v_mul_f64 v[82:83], v[94:95], s[24:25]
	v_mul_f64 v[104:105], v[80:81], s[24:25]
	v_add_f64 v[78:79], v[92:93], -v[78:79]
	v_mul_f64 v[92:93], v[76:77], s[34:35]
	s_delay_alu instid0(VALU_DEP_4) | instskip(NEXT) | instid1(VALU_DEP_4)
	v_add_f64 v[82:83], v[237:238], v[82:83]
	v_add_f64 v[104:105], v[104:105], -v[221:222]
	s_delay_alu instid0(VALU_DEP_3) | instskip(NEXT) | instid1(VALU_DEP_3)
	v_add_f64 v[92:93], v[92:93], -v[213:214]
	v_add_f64 v[32:33], v[82:83], v[32:33]
	v_mul_f64 v[82:83], v[116:117], s[16:17]
	s_delay_alu instid0(VALU_DEP_3)
	v_add_f64 v[34:35], v[92:93], v[34:35]
	v_mul_f64 v[92:93], v[122:123], s[18:19]
	v_mul_f64 v[122:123], v[122:123], s[38:39]
	v_add_f64 v[32:33], v[42:43], v[32:33]
	v_add_f64 v[82:83], v[82:83], -v[229:230]
	v_mul_f64 v[42:43], v[132:133], s[26:27]
	v_add_f64 v[34:35], v[104:105], v[34:35]
	v_mul_f64 v[104:105], v[128:129], s[34:35]
	v_add_f64 v[32:33], v[40:41], v[32:33]
	v_mul_f64 v[40:41], v[154:155], s[10:11]
	v_add_f64 v[42:43], v[42:43], -v[245:246]
	v_add_f64 v[34:35], v[86:87], v[34:35]
	v_mul_f64 v[86:87], v[112:113], s[16:17]
	v_fma_f64 v[64:65], v[136:137], s[50:51], v[104:105]
	v_add_f64 v[32:33], v[38:39], v[32:33]
	v_mul_f64 v[38:39], v[142:143], s[10:11]
	v_add_f64 v[40:41], v[253:254], v[40:41]
	v_add_f64 v[34:35], v[82:83], v[34:35]
	v_mul_f64 v[82:83], v[110:111], s[52:53]
	v_fma_f64 v[66:67], v[120:121], s[46:47], v[86:87]
	v_add_f64 v[32:33], v[36:37], v[32:33]
	v_add_f64 v[38:39], v[38:39], -v[243:244]
	v_add_f64 v[34:35], v[78:79], v[34:35]
	v_mul_f64 v[78:79], v[84:85], s[30:31]
	s_delay_alu instid0(VALU_DEP_2) | instskip(SKIP_1) | instid1(VALU_DEP_2)
	v_add_f64 v[36:37], v[42:43], v[34:35]
	v_add_f64 v[34:35], v[40:41], v[32:33]
	;; [unrolled: 1-line block ×3, first 2 shown]
	s_delay_alu instid0(VALU_DEP_4) | instskip(NEXT) | instid1(VALU_DEP_1)
	v_fma_f64 v[36:37], v[88:89], s[40:41], v[78:79]
	v_add_f64 v[36:37], v[36:37], v[72:73]
	v_mul_f64 v[72:73], v[106:107], s[40:41]
	s_delay_alu instid0(VALU_DEP_1) | instskip(NEXT) | instid1(VALU_DEP_1)
	v_fma_f64 v[38:39], v[76:77], s[30:31], -v[72:73]
	v_add_f64 v[38:39], v[38:39], v[52:53]
	v_mul_f64 v[52:53], v[94:95], s[10:11]
	s_delay_alu instid0(VALU_DEP_1) | instskip(SKIP_1) | instid1(VALU_DEP_2)
	v_fma_f64 v[40:41], v[108:109], s[52:53], v[52:53]
	v_fma_f64 v[52:53], v[108:109], s[8:9], v[52:53]
	v_add_f64 v[36:37], v[40:41], v[36:37]
	v_fma_f64 v[40:41], v[80:81], s[10:11], -v[82:83]
	s_delay_alu instid0(VALU_DEP_1) | instskip(SKIP_1) | instid1(VALU_DEP_1)
	v_add_f64 v[38:39], v[40:41], v[38:39]
	v_fma_f64 v[40:41], v[120:121], s[18:19], v[86:87]
	v_add_f64 v[36:37], v[40:41], v[36:37]
	v_fma_f64 v[40:41], v[90:91], s[16:17], -v[92:93]
	s_delay_alu instid0(VALU_DEP_1) | instskip(SKIP_1) | instid1(VALU_DEP_1)
	v_add_f64 v[38:39], v[40:41], v[38:39]
	;; [unrolled: 5-line block ×6, first 2 shown]
	v_fma_f64 v[40:41], v[88:89], s[36:37], v[189:190]
	v_add_f64 v[40:41], v[40:41], v[68:69]
	v_mul_f64 v[68:69], v[106:107], s[36:37]
	s_delay_alu instid0(VALU_DEP_1) | instskip(SKIP_2) | instid1(VALU_DEP_3)
	v_fma_f64 v[42:43], v[76:77], s[24:25], -v[68:69]
	v_fma_f64 v[54:55], v[76:77], s[24:25], v[68:69]
	v_fma_f64 v[68:69], v[162:163], s[54:55], v[185:186]
	v_add_f64 v[42:43], v[42:43], v[50:51]
	v_mul_f64 v[50:51], v[94:95], s[6:7]
	s_delay_alu instid0(VALU_DEP_4) | instskip(SKIP_1) | instid1(VALU_DEP_3)
	v_add_f64 v[54:55], v[54:55], v[58:59]
	v_fma_f64 v[58:59], v[152:153], s[22:23], v[177:178]
	v_fma_f64 v[106:107], v[108:109], s[0:1], v[50:51]
	;; [unrolled: 1-line block ×3, first 2 shown]
	s_delay_alu instid0(VALU_DEP_2) | instskip(SKIP_1) | instid1(VALU_DEP_3)
	v_add_f64 v[40:41], v[106:107], v[40:41]
	v_mul_f64 v[106:107], v[110:111], s[0:1]
	v_add_f64 v[48:49], v[50:51], v[48:49]
	s_delay_alu instid0(VALU_DEP_2) | instskip(SKIP_1) | instid1(VALU_DEP_2)
	v_fma_f64 v[110:111], v[80:81], s[6:7], -v[106:107]
	v_fma_f64 v[50:51], v[80:81], s[6:7], v[106:107]
	v_add_f64 v[42:43], v[110:111], v[42:43]
	v_mul_f64 v[110:111], v[112:113], s[30:31]
	s_delay_alu instid0(VALU_DEP_3) | instskip(NEXT) | instid1(VALU_DEP_2)
	v_add_f64 v[50:51], v[50:51], v[54:55]
	v_fma_f64 v[191:192], v[120:121], s[38:39], v[110:111]
	v_fma_f64 v[54:55], v[120:121], s[40:41], v[110:111]
	s_delay_alu instid0(VALU_DEP_2) | instskip(SKIP_1) | instid1(VALU_DEP_3)
	v_add_f64 v[40:41], v[191:192], v[40:41]
	v_fma_f64 v[191:192], v[90:91], s[30:31], -v[122:123]
	v_add_f64 v[48:49], v[54:55], v[48:49]
	v_fma_f64 v[54:55], v[90:91], s[30:31], v[122:123]
	s_delay_alu instid0(VALU_DEP_3) | instskip(SKIP_1) | instid1(VALU_DEP_3)
	v_add_f64 v[42:43], v[191:192], v[42:43]
	v_mul_f64 v[191:192], v[128:129], s[20:21]
	v_add_f64 v[50:51], v[54:55], v[50:51]
	s_delay_alu instid0(VALU_DEP_2) | instskip(SKIP_1) | instid1(VALU_DEP_2)
	v_fma_f64 v[193:194], v[136:137], s[56:57], v[191:192]
	v_fma_f64 v[54:55], v[136:137], s[22:23], v[191:192]
	v_add_f64 v[40:41], v[193:194], v[40:41]
	v_fma_f64 v[193:194], v[116:117], s[20:21], -v[150:151]
	s_delay_alu instid0(VALU_DEP_3) | instskip(SKIP_1) | instid1(VALU_DEP_3)
	v_add_f64 v[48:49], v[54:55], v[48:49]
	v_fma_f64 v[54:55], v[116:117], s[20:21], v[150:151]
	v_add_f64 v[42:43], v[193:194], v[42:43]
	v_mul_f64 v[193:194], v[138:139], s[10:11]
	s_delay_alu instid0(VALU_DEP_3) | instskip(NEXT) | instid1(VALU_DEP_2)
	v_add_f64 v[50:51], v[54:55], v[50:51]
	v_fma_f64 v[195:196], v[152:153], s[8:9], v[193:194]
	v_fma_f64 v[54:55], v[152:153], s[52:53], v[193:194]
	s_delay_alu instid0(VALU_DEP_2) | instskip(SKIP_1) | instid1(VALU_DEP_3)
	v_add_f64 v[40:41], v[195:196], v[40:41]
	v_fma_f64 v[195:196], v[124:125], s[10:11], -v[160:161]
	v_add_f64 v[48:49], v[54:55], v[48:49]
	v_fma_f64 v[54:55], v[124:125], s[10:11], v[160:161]
	s_delay_alu instid0(VALU_DEP_3) | instskip(SKIP_1) | instid1(VALU_DEP_3)
	v_add_f64 v[42:43], v[195:196], v[42:43]
	v_mul_f64 v[195:196], v[146:147], s[34:35]
	v_add_f64 v[50:51], v[54:55], v[50:51]
	s_delay_alu instid0(VALU_DEP_2) | instskip(SKIP_1) | instid1(VALU_DEP_2)
	v_fma_f64 v[54:55], v[158:159], s[50:51], v[195:196]
	v_fma_f64 v[197:198], v[158:159], s[44:45], v[195:196]
	v_add_f64 v[48:49], v[54:55], v[48:49]
	v_fma_f64 v[54:55], v[132:133], s[34:35], v[168:169]
	s_delay_alu instid0(VALU_DEP_3) | instskip(SKIP_1) | instid1(VALU_DEP_3)
	v_add_f64 v[40:41], v[197:198], v[40:41]
	v_fma_f64 v[197:198], v[132:133], s[34:35], -v[168:169]
	v_add_f64 v[54:55], v[54:55], v[50:51]
	v_fma_f64 v[50:51], v[162:163], s[18:19], v[199:200]
	s_delay_alu instid0(VALU_DEP_3) | instskip(SKIP_1) | instid1(VALU_DEP_3)
	v_add_f64 v[197:198], v[197:198], v[42:43]
	v_fma_f64 v[42:43], v[162:163], s[46:47], v[199:200]
	v_add_f64 v[50:51], v[50:51], v[48:49]
	v_add_f64 v[48:49], v[56:57], v[54:55]
	v_fma_f64 v[54:55], v[88:89], s[38:39], v[78:79]
	v_fma_f64 v[56:57], v[158:159], s[48:49], v[181:182]
	v_add_f64 v[42:43], v[42:43], v[40:41]
	v_fma_f64 v[40:41], v[142:143], s[16:17], -v[173:174]
	s_delay_alu instid0(VALU_DEP_4)
	v_add_f64 v[54:55], v[54:55], v[70:71]
	v_fma_f64 v[70:71], v[76:77], s[30:31], v[72:73]
	v_mul_f64 v[72:73], v[76:77], s[10:11]
	v_mul_f64 v[76:77], v[80:81], s[16:17]
	v_add_f64 v[40:41], v[40:41], v[197:198]
	v_add_f64 v[52:53], v[52:53], v[54:55]
	;; [unrolled: 1-line block ×3, first 2 shown]
	v_fma_f64 v[54:55], v[80:81], s[10:11], v[82:83]
	v_mul_f64 v[70:71], v[116:117], s[24:25]
	s_delay_alu instid0(VALU_DEP_4) | instskip(SKIP_1) | instid1(VALU_DEP_4)
	v_add_f64 v[52:53], v[66:67], v[52:53]
	v_mul_f64 v[66:67], v[84:85], s[10:11]
	v_add_f64 v[54:55], v[54:55], v[60:61]
	v_fma_f64 v[60:61], v[90:91], s[16:17], v[92:93]
	s_delay_alu instid0(VALU_DEP_4) | instskip(SKIP_1) | instid1(VALU_DEP_3)
	v_add_f64 v[52:53], v[64:65], v[52:53]
	v_mul_f64 v[64:65], v[94:95], s[16:17]
	v_add_f64 v[54:55], v[60:61], v[54:55]
	v_fma_f64 v[60:61], v[116:117], s[34:35], v[175:176]
	s_delay_alu instid0(VALU_DEP_4) | instskip(SKIP_1) | instid1(VALU_DEP_3)
	v_add_f64 v[52:53], v[58:59], v[52:53]
	v_fma_f64 v[58:59], v[124:125], s[20:21], v[179:180]
	v_add_f64 v[54:55], v[60:61], v[54:55]
	v_mul_f64 v[60:61], v[112:113], s[20:21]
	s_delay_alu instid0(VALU_DEP_4) | instskip(SKIP_1) | instid1(VALU_DEP_4)
	v_add_f64 v[52:53], v[56:57], v[52:53]
	v_fma_f64 v[56:57], v[132:133], s[6:7], v[183:184]
	v_add_f64 v[54:55], v[58:59], v[54:55]
	v_fma_f64 v[58:59], v[142:143], s[26:27], v[187:188]
	s_delay_alu instid0(VALU_DEP_2) | instskip(SKIP_2) | instid1(VALU_DEP_3)
	v_add_f64 v[56:57], v[56:57], v[54:55]
	v_add_f64 v[54:55], v[68:69], v[52:53]
	v_mul_f64 v[68:69], v[124:125], s[26:27]
	v_add_f64 v[52:53], v[58:59], v[56:57]
	v_mul_f64 v[56:57], v[138:139], s[26:27]
	v_mul_f64 v[58:59], v[128:129], s[24:25]
	s_waitcnt vmcnt(0)
	s_delay_alu instid0(VALU_DEP_2)
	v_add_f64 v[56:57], v[0:1], v[56:57]
	scratch_load_b64 v[0:1], off, off offset:172 ; 8-byte Folded Reload
	s_waitcnt vmcnt(0)
	v_add_f64 v[58:59], v[0:1], v[58:59]
	scratch_load_b64 v[0:1], off, off offset:124 ; 8-byte Folded Reload
	s_waitcnt vmcnt(0)
	;; [unrolled: 3-line block ×4, first 2 shown]
	v_add_f64 v[66:67], v[0:1], v[66:67]
	scratch_load_b64 v[0:1], off, off offset:156 ; 8-byte Folded Reload
	v_add_f64 v[66:67], v[66:67], v[74:75]
	s_delay_alu instid0(VALU_DEP_1) | instskip(SKIP_1) | instid1(VALU_DEP_2)
	v_add_f64 v[64:65], v[64:65], v[66:67]
	v_mul_f64 v[66:67], v[146:147], s[30:31]
	v_add_f64 v[60:61], v[60:61], v[64:65]
	v_mul_f64 v[64:65], v[132:133], s[30:31]
	s_delay_alu instid0(VALU_DEP_3) | instskip(NEXT) | instid1(VALU_DEP_3)
	v_add_f64 v[66:67], v[148:149], v[66:67]
	v_add_f64 v[58:59], v[58:59], v[60:61]
	s_delay_alu instid0(VALU_DEP_1) | instskip(NEXT) | instid1(VALU_DEP_1)
	v_add_f64 v[56:57], v[56:57], v[58:59]
	v_add_f64 v[56:57], v[66:67], v[56:57]
	s_waitcnt vmcnt(0)
	v_add_f64 v[68:69], v[68:69], -v[0:1]
	scratch_load_b64 v[0:1], off, off offset:140 ; 8-byte Folded Reload
	s_waitcnt vmcnt(0)
	v_add_f64 v[70:71], v[70:71], -v[0:1]
	scratch_load_b64 v[0:1], off, off offset:44 ; 8-byte Folded Reload
	;; [unrolled: 3-line block ×3, first 2 shown]
	v_add_f64 v[62:63], v[72:73], v[62:63]
	v_mul_f64 v[72:73], v[90:91], s[20:21]
	s_waitcnt vmcnt(0)
	v_add_f64 v[76:77], v[76:77], -v[0:1]
	scratch_load_b64 v[0:1], off, off offset:92 ; 8-byte Folded Reload
	v_add_f64 v[62:63], v[76:77], v[62:63]
	s_waitcnt vmcnt(0)
	v_add_f64 v[72:73], v[72:73], -v[0:1]
	scratch_load_b64 v[0:1], off, off offset:188 ; 8-byte Folded Reload
	v_add_f64 v[62:63], v[72:73], v[62:63]
	s_delay_alu instid0(VALU_DEP_1) | instskip(SKIP_1) | instid1(VALU_DEP_2)
	v_add_f64 v[60:61], v[70:71], v[62:63]
	v_mul_f64 v[62:63], v[154:155], s[34:35]
	v_add_f64 v[58:59], v[68:69], v[60:61]
	v_mul_f64 v[60:61], v[142:143], s[34:35]
	s_delay_alu instid0(VALU_DEP_3)
	v_add_f64 v[62:63], v[156:157], v[62:63]
	s_waitcnt vmcnt(0)
	v_add_f64 v[64:65], v[64:65], -v[0:1]
	scratch_load_b64 v[0:1], off, off offset:220 ; 8-byte Folded Reload
	v_add_f64 v[64:65], v[64:65], v[58:59]
	v_add_f64 v[58:59], v[62:63], v[56:57]
	s_waitcnt vmcnt(0)
	v_add_f64 v[60:61], v[60:61], -v[0:1]
	scratch_load_b32 v0, off, off           ; 4-byte Folded Reload
	v_add_f64 v[56:57], v[60:61], v[64:65]
	s_waitcnt vmcnt(0)
	v_mul_lo_u16 v0, v0, 17
	s_delay_alu instid0(VALU_DEP_1) | instskip(NEXT) | instid1(VALU_DEP_1)
	v_and_b32_e32 v0, 0xffff, v0
	v_lshlrev_b32_e32 v0, 4, v0
	ds_store_b128 v0, v[24:27] offset:32
	ds_store_b128 v0, v[28:31] offset:48
	;; [unrolled: 1-line block ×8, first 2 shown]
	scratch_load_b128 v[1:4], off, off offset:28 ; 16-byte Folded Reload
	s_waitcnt vmcnt(0)
	ds_store_b128 v0, v[1:4] offset:240
	ds_store_b128 v0, v[8:11] offset:144
	;; [unrolled: 1-line block ×7, first 2 shown]
	ds_store_b128 v0, v[12:15]
	scratch_load_b128 v[1:4], off, off offset:12 ; 16-byte Folded Reload
	s_waitcnt vmcnt(0)
	ds_store_b128 v0, v[1:4] offset:256
.LBB0_7:
	s_or_b32 exec_lo, exec_lo, s33
	scratch_load_b32 v254, off, off         ; 4-byte Folded Reload
	s_load_b128 s[4:7], s[4:5], 0x0
	s_waitcnt vmcnt(0) lgkmcnt(0)
	s_barrier
	buffer_gl0_inv
	s_mov_b32 s28, 0x42a4c3d2
	s_mov_b32 s26, 0x66966769
	;; [unrolled: 1-line block ×30, first 2 shown]
	v_and_b32_e32 v0, 0xff, v254
	s_delay_alu instid0(VALU_DEP_1) | instskip(NEXT) | instid1(VALU_DEP_1)
	v_mul_lo_u16 v0, 0xf1, v0
	v_lshrrev_b16 v168, 12, v0
	s_delay_alu instid0(VALU_DEP_1) | instskip(NEXT) | instid1(VALU_DEP_1)
	v_mul_lo_u16 v0, v168, 17
	v_sub_nc_u16 v0, v254, v0
	s_delay_alu instid0(VALU_DEP_1) | instskip(NEXT) | instid1(VALU_DEP_1)
	v_and_b32_e32 v171, 0xff, v0
	v_mul_u32_u24_e32 v0, 12, v171
	s_delay_alu instid0(VALU_DEP_1)
	v_lshlrev_b32_e32 v60, 4, v0
	s_clause 0x3
	global_load_b128 v[0:3], v60, s[2:3]
	global_load_b128 v[4:7], v60, s[2:3] offset:176
	global_load_b128 v[12:15], v60, s[2:3] offset:16
	;; [unrolled: 1-line block ×3, first 2 shown]
	ds_load_b128 v[28:31], v255 offset:816
	ds_load_b128 v[24:27], v255 offset:9792
	ds_load_b128 v[128:131], v255
	s_waitcnt vmcnt(3) lgkmcnt(2)
	v_mul_f64 v[32:33], v[30:31], v[2:3]
	v_mul_f64 v[34:35], v[28:29], v[2:3]
	s_waitcnt vmcnt(2) lgkmcnt(1)
	v_mul_f64 v[36:37], v[24:25], v[6:7]
	v_mul_f64 v[38:39], v[26:27], v[6:7]
	s_clause 0x1
	scratch_store_b128 off, v[0:3], off offset:76
	scratch_store_b128 off, v[4:7], off offset:92
	s_waitcnt vmcnt(1)
	scratch_store_b128 off, v[12:15], off offset:124 ; 16-byte Folded Spill
	v_fma_f64 v[114:115], v[28:29], v[0:1], -v[32:33]
	v_fma_f64 v[116:117], v[30:31], v[0:1], v[34:35]
	ds_load_b128 v[28:31], v255 offset:1632
	v_fma_f64 v[26:27], v[26:27], v[4:5], v[36:37]
	v_fma_f64 v[24:25], v[24:25], v[4:5], -v[38:39]
	ds_load_b128 v[36:39], v255 offset:2448
	s_waitcnt lgkmcnt(1)
	v_mul_f64 v[32:33], v[30:31], v[14:15]
	v_add_f64 v[152:153], v[116:117], v[26:27]
	v_add_f64 v[124:125], v[114:115], v[24:25]
	s_delay_alu instid0(VALU_DEP_3) | instskip(SKIP_1) | instid1(VALU_DEP_1)
	v_fma_f64 v[64:65], v[28:29], v[12:13], -v[32:33]
	v_mul_f64 v[28:29], v[28:29], v[14:15]
	v_fma_f64 v[66:67], v[30:31], v[12:13], v[28:29]
	ds_load_b128 v[30:33], v255 offset:8976
	ds_load_b128 v[40:43], v255 offset:8160
	s_waitcnt vmcnt(0)
	scratch_store_b128 off, v[8:11], off offset:108 ; 16-byte Folded Spill
	s_clause 0x1
	global_load_b128 v[4:7], v60, s[2:3] offset:32
	global_load_b128 v[0:3], v60, s[2:3] offset:48
	s_waitcnt lgkmcnt(1)
	v_mul_f64 v[28:29], v[30:31], v[10:11]
	s_delay_alu instid0(VALU_DEP_1) | instskip(SKIP_1) | instid1(VALU_DEP_1)
	v_fma_f64 v[28:29], v[32:33], v[8:9], v[28:29]
	v_mul_f64 v[32:33], v[32:33], v[10:11]
	v_fma_f64 v[30:31], v[30:31], v[8:9], -v[32:33]
	s_waitcnt vmcnt(1)
	v_mul_f64 v[48:49], v[38:39], v[6:7]
	scratch_store_b128 off, v[4:7], off offset:188 ; 16-byte Folded Spill
	v_fma_f64 v[72:73], v[36:37], v[4:5], -v[48:49]
	v_mul_f64 v[36:37], v[36:37], v[6:7]
	s_delay_alu instid0(VALU_DEP_1)
	v_fma_f64 v[74:75], v[38:39], v[4:5], v[36:37]
	s_clause 0x1
	global_load_b128 v[8:11], v60, s[2:3] offset:144
	global_load_b128 v[4:7], v60, s[2:3] offset:128
	s_waitcnt vmcnt(1) lgkmcnt(0)
	v_mul_f64 v[48:49], v[40:41], v[10:11]
	scratch_store_b128 off, v[8:11], off offset:220 ; 16-byte Folded Spill
	v_fma_f64 v[68:69], v[42:43], v[8:9], v[48:49]
	v_mul_f64 v[42:43], v[42:43], v[10:11]
	s_delay_alu instid0(VALU_DEP_1)
	v_fma_f64 v[70:71], v[40:41], v[8:9], -v[42:43]
	ds_load_b128 v[40:43], v255 offset:3264
	ds_load_b128 v[48:51], v255 offset:4080
	scratch_store_b128 off, v[0:3], off offset:140 ; 16-byte Folded Spill
	s_waitcnt lgkmcnt(1)
	v_mul_f64 v[56:57], v[40:41], v[2:3]
	v_add_f64 v[190:191], v[72:73], -v[70:71]
	s_delay_alu instid0(VALU_DEP_2) | instskip(SKIP_1) | instid1(VALU_DEP_3)
	v_fma_f64 v[80:81], v[42:43], v[0:1], v[56:57]
	v_mul_f64 v[42:43], v[42:43], v[2:3]
	v_mul_f64 v[192:193], v[190:191], s[20:21]
	;; [unrolled: 1-line block ×4, first 2 shown]
	s_delay_alu instid0(VALU_DEP_4)
	v_fma_f64 v[82:83], v[40:41], v[0:1], -v[42:43]
	ds_load_b128 v[40:43], v255 offset:7344
	ds_load_b128 v[106:109], v255 offset:6528
	s_waitcnt vmcnt(0)
	scratch_store_b128 off, v[4:7], off offset:156 ; 16-byte Folded Spill
	s_waitcnt lgkmcnt(1)
	v_mul_f64 v[56:57], v[40:41], v[6:7]
	s_delay_alu instid0(VALU_DEP_1)
	v_fma_f64 v[76:77], v[42:43], v[4:5], v[56:57]
	s_clause 0x1
	global_load_b128 v[56:59], v60, s[2:3] offset:64
	global_load_b128 v[0:3], v60, s[2:3] offset:80
	v_mul_f64 v[42:43], v[42:43], v[6:7]
	v_add_f64 v[194:195], v[80:81], -v[76:77]
	v_add_f64 v[200:201], v[80:81], v[76:77]
	s_delay_alu instid0(VALU_DEP_3) | instskip(NEXT) | instid1(VALU_DEP_3)
	v_fma_f64 v[78:79], v[40:41], v[4:5], -v[42:43]
	v_mul_f64 v[196:197], v[194:195], s[36:37]
	s_delay_alu instid0(VALU_DEP_2) | instskip(NEXT) | instid1(VALU_DEP_1)
	v_add_f64 v[198:199], v[82:83], -v[78:79]
	v_mul_f64 v[202:203], v[198:199], s[36:37]
	v_mul_f64 v[4:5], v[198:199], s[26:27]
	s_delay_alu instid0(VALU_DEP_1) | instskip(SKIP_3) | instid1(VALU_DEP_1)
	v_fma_f64 v[6:7], v[200:201], s[18:19], v[4:5]
	v_fma_f64 v[4:5], v[200:201], s[18:19], -v[4:5]
	s_waitcnt vmcnt(1)
	v_mul_f64 v[61:62], v[50:51], v[58:59]
	v_fma_f64 v[84:85], v[48:49], v[56:57], -v[61:62]
	v_mul_f64 v[48:49], v[48:49], v[58:59]
	s_delay_alu instid0(VALU_DEP_1)
	v_fma_f64 v[86:87], v[50:51], v[56:57], v[48:49]
	ds_load_b128 v[48:51], v255 offset:4896
	ds_load_b128 v[110:113], v255 offset:5712
	s_waitcnt vmcnt(0)
	scratch_store_b128 off, v[0:3], off offset:172 ; 16-byte Folded Spill
	s_waitcnt lgkmcnt(1)
	v_mul_f64 v[61:62], v[50:51], v[2:3]
	s_delay_alu instid0(VALU_DEP_1) | instskip(SKIP_1) | instid1(VALU_DEP_1)
	v_fma_f64 v[88:89], v[48:49], v[0:1], -v[61:62]
	v_mul_f64 v[48:49], v[48:49], v[2:3]
	v_fma_f64 v[90:91], v[50:51], v[0:1], v[48:49]
	s_clause 0x1
	global_load_b128 v[0:3], v60, s[2:3] offset:96
	global_load_b128 v[60:63], v60, s[2:3] offset:112
	s_waitcnt vmcnt(1) lgkmcnt(0)
	v_mul_f64 v[92:93], v[112:113], v[2:3]
	s_waitcnt vmcnt(0)
	v_mul_f64 v[104:105], v[108:109], v[62:63]
	v_mul_f64 v[94:95], v[110:111], v[2:3]
	scratch_store_b128 off, v[0:3], off offset:204 ; 16-byte Folded Spill
	v_fma_f64 v[92:93], v[110:111], v[0:1], -v[92:93]
	v_fma_f64 v[104:105], v[106:107], v[60:61], -v[104:105]
	v_mul_f64 v[106:107], v[106:107], v[62:63]
	v_fma_f64 v[94:95], v[112:113], v[0:1], v[94:95]
	v_add_f64 v[0:1], v[128:129], v[114:115]
	v_add_f64 v[218:219], v[88:89], v[92:93]
	;; [unrolled: 1-line block ×3, first 2 shown]
	v_fma_f64 v[106:107], v[108:109], v[60:61], v[106:107]
	v_add_f64 v[108:109], v[116:117], -v[26:27]
	v_add_f64 v[210:211], v[84:85], -v[104:105]
	;; [unrolled: 1-line block ×4, first 2 shown]
	v_add_f64 v[224:225], v[90:91], v[94:95]
	scratch_store_b64 off, v[0:1], off offset:44 ; 8-byte Folded Spill
	v_mul_f64 v[0:1], v[194:195], s[26:27]
	v_add_f64 v[204:205], v[86:87], -v[106:107]
	v_mul_f64 v[110:111], v[108:109], s[34:35]
	v_mul_f64 v[112:113], v[108:109], s[28:29]
	;; [unrolled: 1-line block ×6, first 2 shown]
	v_add_f64 v[212:213], v[86:87], v[106:107]
	v_mul_f64 v[214:215], v[210:211], s[38:39]
	v_mul_f64 v[242:243], v[210:211], s[28:29]
	;; [unrolled: 1-line block ×7, first 2 shown]
	v_fma_f64 v[126:127], v[124:125], s[30:31], -v[110:111]
	v_fma_f64 v[132:133], v[124:125], s[30:31], v[110:111]
	v_fma_f64 v[134:135], v[124:125], s[16:17], -v[112:113]
	v_fma_f64 v[136:137], v[124:125], s[16:17], v[112:113]
	;; [unrolled: 2-line block ×6, first 2 shown]
	v_add_f64 v[108:109], v[114:115], -v[24:25]
	v_mul_f64 v[240:241], v[204:205], s[28:29]
	v_fma_f64 v[38:39], v[218:219], s[10:11], -v[36:37]
	v_fma_f64 v[54:55], v[212:213], s[10:11], v[52:53]
	v_add_f64 v[178:179], v[128:129], v[134:135]
	v_add_f64 v[182:183], v[128:129], v[138:139]
	;; [unrolled: 1-line block ×3, first 2 shown]
	v_add_f64 v[142:143], v[64:65], -v[30:31]
	v_add_f64 v[148:149], v[128:129], v[148:149]
	v_mul_f64 v[110:111], v[108:109], s[34:35]
	v_mul_f64 v[112:113], v[108:109], s[28:29]
	;; [unrolled: 1-line block ×6, first 2 shown]
	s_mov_b32 s35, 0x3fddbe06
	s_delay_alu instid0(SALU_CYCLE_1)
	v_mul_f64 v[220:221], v[216:217], s[34:35]
	v_mul_f64 v[226:227], v[222:223], s[34:35]
	;; [unrolled: 1-line block ×8, first 2 shown]
	v_fma_f64 v[156:157], v[152:153], s[30:31], -v[110:111]
	v_fma_f64 v[154:155], v[152:153], s[30:31], v[110:111]
	v_fma_f64 v[158:159], v[152:153], s[16:17], v[112:113]
	v_fma_f64 v[160:161], v[152:153], s[16:17], -v[112:113]
	v_fma_f64 v[169:170], v[152:153], s[10:11], -v[120:121]
	v_add_f64 v[110:111], v[130:131], v[116:117]
	v_add_f64 v[112:113], v[128:129], v[132:133]
	;; [unrolled: 1-line block ×3, first 2 shown]
	v_fma_f64 v[162:163], v[152:153], s[18:19], v[118:119]
	v_fma_f64 v[166:167], v[152:153], s[10:11], v[120:121]
	;; [unrolled: 1-line block ×3, first 2 shown]
	v_fma_f64 v[174:175], v[152:153], s[8:9], -v[122:123]
	v_add_f64 v[120:121], v[128:129], v[126:127]
	v_add_f64 v[126:127], v[128:129], v[136:137]
	;; [unrolled: 1-line block ×4, first 2 shown]
	v_fma_f64 v[164:165], v[152:153], s[18:19], -v[118:119]
	v_fma_f64 v[176:177], v[152:153], s[0:1], v[108:109]
	v_fma_f64 v[152:153], v[152:153], s[0:1], -v[108:109]
	v_add_f64 v[144:145], v[74:75], -v[68:69]
	v_fma_f64 v[34:35], v[206:207], s[30:31], -v[32:33]
	v_add_f64 v[114:115], v[130:131], v[156:157]
	v_add_f64 v[156:157], v[128:129], v[124:125]
	v_add_f64 v[124:125], v[66:67], -v[28:29]
	v_add_f64 v[122:123], v[130:131], v[160:161]
	v_add_f64 v[138:139], v[130:131], v[169:170]
	;; [unrolled: 1-line block ×4, first 2 shown]
	v_mul_f64 v[150:151], v[142:143], s[24:25]
	v_add_f64 v[184:185], v[130:131], v[162:163]
	v_add_f64 v[118:119], v[130:131], v[154:155]
	;; [unrolled: 1-line block ×9, first 2 shown]
	v_mul_f64 v[152:153], v[144:145], s[20:21]
	v_mul_f64 v[232:233], v[144:145], s[40:41]
	s_mov_b32 s41, 0x3fea55e2
	s_mov_b32 s40, s28
	v_mul_f64 v[16:17], v[144:145], s[28:29]
	v_mul_f64 v[12:13], v[216:217], s[40:41]
	;; [unrolled: 1-line block ×7, first 2 shown]
	s_mov_b32 s37, 0x3fcea1e5
	s_mov_b32 s36, s20
	s_delay_alu instid0(SALU_CYCLE_1)
	v_mul_f64 v[8:9], v[204:205], s[36:37]
	v_mul_f64 v[20:21], v[194:195], s[36:37]
	v_fma_f64 v[14:15], v[218:219], s[16:17], -v[12:13]
	v_fma_f64 v[50:51], v[200:201], s[16:17], v[48:49]
	v_fma_f64 v[128:129], v[116:117], s[10:11], -v[132:133]
	v_fma_f64 v[10:11], v[206:207], s[0:1], -v[8:9]
	s_delay_alu instid0(VALU_DEP_2) | instskip(SKIP_1) | instid1(VALU_DEP_1)
	v_add_f64 v[162:163], v[128:129], v[178:179]
	v_add_f64 v[128:129], v[66:67], v[28:29]
	v_fma_f64 v[130:131], v[128:129], s[10:11], v[150:151]
	v_fma_f64 v[178:179], v[128:129], s[0:1], v[230:231]
	s_delay_alu instid0(VALU_DEP_2) | instskip(SKIP_1) | instid1(VALU_DEP_3)
	v_add_f64 v[164:165], v[130:131], v[180:181]
	v_add_f64 v[130:131], v[72:73], v[70:71]
	;; [unrolled: 1-line block ×3, first 2 shown]
	s_delay_alu instid0(VALU_DEP_2)
	v_fma_f64 v[172:173], v[130:131], s[0:1], -v[152:153]
	v_fma_f64 v[180:181], v[130:131], s[10:11], -v[232:233]
	v_fma_f64 v[18:19], v[130:131], s[16:17], -v[16:17]
	v_fma_f64 v[42:43], v[130:131], s[8:9], -v[40:41]
	v_fma_f64 v[40:41], v[130:131], s[8:9], v[40:41]
	v_fma_f64 v[16:17], v[130:131], s[16:17], v[16:17]
	v_add_f64 v[172:173], v[172:173], v[162:163]
	v_add_f64 v[162:163], v[74:75], v[68:69]
	s_delay_alu instid0(VALU_DEP_1) | instskip(SKIP_1) | instid1(VALU_DEP_2)
	v_fma_f64 v[174:175], v[162:163], s[0:1], v[192:193]
	v_fma_f64 v[46:47], v[162:163], s[8:9], v[44:45]
	v_add_f64 v[174:175], v[174:175], v[164:165]
	v_add_f64 v[164:165], v[82:83], v[78:79]
	s_delay_alu instid0(VALU_DEP_1) | instskip(SKIP_3) | instid1(VALU_DEP_4)
	v_fma_f64 v[176:177], v[164:165], s[8:9], -v[196:197]
	v_fma_f64 v[2:3], v[164:165], s[18:19], -v[0:1]
	;; [unrolled: 1-line block ×3, first 2 shown]
	v_fma_f64 v[0:1], v[164:165], s[18:19], v[0:1]
	v_add_f64 v[172:173], v[176:177], v[172:173]
	v_fma_f64 v[176:177], v[200:201], s[8:9], v[202:203]
	s_delay_alu instid0(VALU_DEP_1) | instskip(SKIP_1) | instid1(VALU_DEP_1)
	v_add_f64 v[174:175], v[176:177], v[174:175]
	v_fma_f64 v[176:177], v[206:207], s[18:19], -v[208:209]
	v_add_f64 v[172:173], v[176:177], v[172:173]
	v_fma_f64 v[176:177], v[212:213], s[18:19], v[214:215]
	s_delay_alu instid0(VALU_DEP_1) | instskip(SKIP_1) | instid1(VALU_DEP_1)
	v_add_f64 v[174:175], v[176:177], v[174:175]
	v_fma_f64 v[176:177], v[218:219], s[30:31], -v[220:221]
	v_add_f64 v[172:173], v[176:177], v[172:173]
	v_fma_f64 v[176:177], v[224:225], s[30:31], v[226:227]
	s_delay_alu instid0(VALU_DEP_1) | instskip(SKIP_1) | instid1(VALU_DEP_1)
	v_add_f64 v[174:175], v[176:177], v[174:175]
	v_fma_f64 v[176:177], v[116:117], s[0:1], -v[228:229]
	v_add_f64 v[176:177], v[176:177], v[182:183]
	v_fma_f64 v[182:183], v[128:129], s[8:9], v[250:251]
	s_delay_alu instid0(VALU_DEP_2) | instskip(SKIP_1) | instid1(VALU_DEP_3)
	v_add_f64 v[176:177], v[180:181], v[176:177]
	v_fma_f64 v[180:181], v[162:163], s[10:11], v[234:235]
	v_add_f64 v[182:183], v[182:183], v[188:189]
	v_mul_f64 v[188:189], v[144:145], s[34:35]
	s_delay_alu instid0(VALU_DEP_3) | instskip(SKIP_1) | instid1(VALU_DEP_3)
	v_add_f64 v[178:179], v[180:181], v[178:179]
	v_fma_f64 v[180:181], v[164:165], s[30:31], -v[236:237]
	v_fma_f64 v[184:185], v[130:131], s[30:31], -v[188:189]
	s_delay_alu instid0(VALU_DEP_2) | instskip(SKIP_1) | instid1(VALU_DEP_1)
	v_add_f64 v[176:177], v[180:181], v[176:177]
	v_fma_f64 v[180:181], v[200:201], s[30:31], v[238:239]
	v_add_f64 v[178:179], v[180:181], v[178:179]
	v_fma_f64 v[180:181], v[206:207], s[16:17], -v[240:241]
	s_delay_alu instid0(VALU_DEP_1) | instskip(SKIP_1) | instid1(VALU_DEP_1)
	v_add_f64 v[176:177], v[180:181], v[176:177]
	v_fma_f64 v[180:181], v[212:213], s[16:17], v[242:243]
	v_add_f64 v[178:179], v[180:181], v[178:179]
	v_fma_f64 v[180:181], v[218:219], s[8:9], -v[244:245]
	s_delay_alu instid0(VALU_DEP_1) | instskip(SKIP_1) | instid1(VALU_DEP_1)
	v_add_f64 v[176:177], v[180:181], v[176:177]
	v_fma_f64 v[180:181], v[224:225], s[8:9], v[246:247]
	v_add_f64 v[178:179], v[180:181], v[178:179]
	v_fma_f64 v[180:181], v[116:117], s[8:9], -v[248:249]
	s_delay_alu instid0(VALU_DEP_1) | instskip(NEXT) | instid1(VALU_DEP_1)
	v_add_f64 v[180:181], v[180:181], v[186:187]
	v_add_f64 v[180:181], v[184:185], v[180:181]
	v_fma_f64 v[184:185], v[162:163], s[30:31], v[252:253]
	s_delay_alu instid0(VALU_DEP_2) | instskip(NEXT) | instid1(VALU_DEP_2)
	v_add_f64 v[2:3], v[2:3], v[180:181]
	v_add_f64 v[182:183], v[184:185], v[182:183]
	s_delay_alu instid0(VALU_DEP_2) | instskip(SKIP_1) | instid1(VALU_DEP_3)
	v_add_f64 v[2:3], v[10:11], v[2:3]
	v_mul_f64 v[10:11], v[210:211], s[36:37]
	v_add_f64 v[6:7], v[6:7], v[182:183]
	s_delay_alu instid0(VALU_DEP_2) | instskip(NEXT) | instid1(VALU_DEP_1)
	v_fma_f64 v[180:181], v[212:213], s[0:1], v[10:11]
	v_add_f64 v[6:7], v[180:181], v[6:7]
	v_add_f64 v[180:181], v[14:15], v[2:3]
	v_mul_f64 v[2:3], v[222:223], s[40:41]
	s_delay_alu instid0(VALU_DEP_1) | instskip(SKIP_1) | instid1(VALU_DEP_2)
	v_fma_f64 v[14:15], v[224:225], s[16:17], v[2:3]
	v_fma_f64 v[2:3], v[224:225], s[16:17], -v[2:3]
	v_add_f64 v[182:183], v[14:15], v[6:7]
	v_mul_f64 v[6:7], v[124:125], s[38:39]
	s_delay_alu instid0(VALU_DEP_1) | instskip(SKIP_1) | instid1(VALU_DEP_2)
	v_fma_f64 v[14:15], v[116:117], s[18:19], -v[6:7]
	v_fma_f64 v[6:7], v[116:117], s[18:19], v[6:7]
	v_add_f64 v[14:15], v[14:15], v[169:170]
	v_mul_f64 v[169:170], v[142:143], s[38:39]
	s_delay_alu instid0(VALU_DEP_3) | instskip(NEXT) | instid1(VALU_DEP_3)
	v_add_f64 v[6:7], v[6:7], v[148:149]
	v_add_f64 v[14:15], v[18:19], v[14:15]
	s_delay_alu instid0(VALU_DEP_3) | instskip(SKIP_1) | instid1(VALU_DEP_4)
	v_fma_f64 v[184:185], v[128:129], s[18:19], v[169:170]
	v_mul_f64 v[18:19], v[190:191], s[28:29]
	v_add_f64 v[6:7], v[16:17], v[6:7]
	s_delay_alu instid0(VALU_DEP_4) | instskip(NEXT) | instid1(VALU_DEP_4)
	v_add_f64 v[14:15], v[22:23], v[14:15]
	v_add_f64 v[166:167], v[184:185], v[166:167]
	s_delay_alu instid0(VALU_DEP_4)
	v_fma_f64 v[184:185], v[162:163], s[16:17], v[18:19]
	v_mul_f64 v[22:23], v[198:199], s[36:37]
	v_fma_f64 v[16:17], v[162:163], s[16:17], -v[18:19]
	v_fma_f64 v[18:19], v[164:165], s[0:1], v[20:21]
	v_add_f64 v[14:15], v[34:35], v[14:15]
	v_mul_f64 v[34:35], v[210:211], s[34:35]
	v_add_f64 v[166:167], v[184:185], v[166:167]
	v_fma_f64 v[184:185], v[200:201], s[0:1], v[22:23]
	v_add_f64 v[6:7], v[18:19], v[6:7]
	v_fma_f64 v[18:19], v[200:201], s[0:1], -v[22:23]
	v_mul_f64 v[22:23], v[222:223], s[20:21]
	s_delay_alu instid0(VALU_DEP_4) | instskip(SKIP_1) | instid1(VALU_DEP_1)
	v_add_f64 v[166:167], v[184:185], v[166:167]
	v_fma_f64 v[184:185], v[212:213], s[30:31], v[34:35]
	v_add_f64 v[166:167], v[184:185], v[166:167]
	v_add_f64 v[184:185], v[38:39], v[14:15]
	v_mul_f64 v[14:15], v[222:223], s[24:25]
	s_delay_alu instid0(VALU_DEP_1) | instskip(SKIP_1) | instid1(VALU_DEP_2)
	v_fma_f64 v[38:39], v[224:225], s[10:11], v[14:15]
	v_fma_f64 v[14:15], v[224:225], s[10:11], -v[14:15]
	v_add_f64 v[186:187], v[38:39], v[166:167]
	v_mul_f64 v[38:39], v[124:125], s[34:35]
	s_delay_alu instid0(VALU_DEP_1) | instskip(SKIP_1) | instid1(VALU_DEP_2)
	v_fma_f64 v[166:167], v[116:117], s[30:31], -v[38:39]
	v_fma_f64 v[38:39], v[116:117], s[30:31], v[38:39]
	v_add_f64 v[160:161], v[166:167], v[160:161]
	v_mul_f64 v[166:167], v[142:143], s[34:35]
	s_delay_alu instid0(VALU_DEP_3) | instskip(NEXT) | instid1(VALU_DEP_3)
	v_add_f64 v[38:39], v[38:39], v[156:157]
	v_add_f64 v[42:43], v[42:43], v[160:161]
	s_delay_alu instid0(VALU_DEP_3) | instskip(NEXT) | instid1(VALU_DEP_3)
	v_fma_f64 v[108:109], v[128:129], s[30:31], v[166:167]
	v_add_f64 v[38:39], v[40:41], v[38:39]
	v_fma_f64 v[40:41], v[162:163], s[8:9], -v[44:45]
	s_delay_alu instid0(VALU_DEP_3) | instskip(NEXT) | instid1(VALU_DEP_1)
	v_add_f64 v[108:109], v[108:109], v[158:159]
	v_add_f64 v[46:47], v[46:47], v[108:109]
	v_mul_f64 v[108:109], v[194:195], s[40:41]
	s_delay_alu instid0(VALU_DEP_2) | instskip(NEXT) | instid1(VALU_DEP_2)
	v_add_f64 v[46:47], v[50:51], v[46:47]
	v_fma_f64 v[158:159], v[164:165], s[16:17], -v[108:109]
	v_mul_f64 v[50:51], v[204:205], s[24:25]
	v_fma_f64 v[44:45], v[164:165], s[16:17], v[108:109]
	s_delay_alu instid0(VALU_DEP_4) | instskip(NEXT) | instid1(VALU_DEP_4)
	v_add_f64 v[46:47], v[54:55], v[46:47]
	v_add_f64 v[42:43], v[158:159], v[42:43]
	s_delay_alu instid0(VALU_DEP_4) | instskip(SKIP_3) | instid1(VALU_DEP_4)
	v_fma_f64 v[158:159], v[206:207], s[10:11], -v[50:51]
	v_mul_f64 v[54:55], v[216:217], s[38:39]
	v_add_f64 v[38:39], v[44:45], v[38:39]
	v_fma_f64 v[44:45], v[200:201], s[16:17], -v[48:49]
	v_add_f64 v[42:43], v[158:159], v[42:43]
	s_delay_alu instid0(VALU_DEP_4) | instskip(NEXT) | instid1(VALU_DEP_1)
	v_fma_f64 v[158:159], v[218:219], s[18:19], -v[54:55]
	v_add_f64 v[158:159], v[158:159], v[42:43]
	v_mul_f64 v[42:43], v[222:223], s[38:39]
	s_delay_alu instid0(VALU_DEP_1) | instskip(SKIP_1) | instid1(VALU_DEP_2)
	v_fma_f64 v[160:161], v[224:225], s[18:19], v[42:43]
	v_fma_f64 v[42:43], v[224:225], s[18:19], -v[42:43]
	v_add_f64 v[160:161], v[160:161], v[46:47]
	v_fma_f64 v[46:47], v[128:129], s[30:31], -v[166:167]
	s_delay_alu instid0(VALU_DEP_1) | instskip(NEXT) | instid1(VALU_DEP_1)
	v_add_f64 v[46:47], v[46:47], v[154:155]
	v_add_f64 v[40:41], v[40:41], v[46:47]
	s_delay_alu instid0(VALU_DEP_1) | instskip(SKIP_1) | instid1(VALU_DEP_1)
	v_add_f64 v[40:41], v[44:45], v[40:41]
	v_fma_f64 v[44:45], v[206:207], s[10:11], v[50:51]
	v_add_f64 v[38:39], v[44:45], v[38:39]
	v_fma_f64 v[44:45], v[212:213], s[10:11], -v[52:53]
	s_delay_alu instid0(VALU_DEP_1) | instskip(SKIP_1) | instid1(VALU_DEP_2)
	v_add_f64 v[40:41], v[44:45], v[40:41]
	v_fma_f64 v[44:45], v[218:219], s[18:19], v[54:55]
	v_add_f64 v[156:157], v[42:43], v[40:41]
	s_delay_alu instid0(VALU_DEP_2) | instskip(SKIP_1) | instid1(VALU_DEP_1)
	v_add_f64 v[154:155], v[44:45], v[38:39]
	v_fma_f64 v[38:39], v[128:129], s[18:19], -v[169:170]
	v_add_f64 v[38:39], v[38:39], v[146:147]
	s_delay_alu instid0(VALU_DEP_1) | instskip(NEXT) | instid1(VALU_DEP_1)
	v_add_f64 v[16:17], v[16:17], v[38:39]
	v_add_f64 v[16:17], v[18:19], v[16:17]
	v_fma_f64 v[18:19], v[206:207], s[30:31], v[32:33]
	s_delay_alu instid0(VALU_DEP_1) | instskip(SKIP_1) | instid1(VALU_DEP_1)
	v_add_f64 v[6:7], v[18:19], v[6:7]
	v_fma_f64 v[18:19], v[212:213], s[30:31], -v[34:35]
	v_add_f64 v[16:17], v[18:19], v[16:17]
	v_fma_f64 v[18:19], v[218:219], s[10:11], v[36:37]
	s_delay_alu instid0(VALU_DEP_2) | instskip(NEXT) | instid1(VALU_DEP_2)
	v_add_f64 v[148:149], v[14:15], v[16:17]
	v_add_f64 v[146:147], v[18:19], v[6:7]
	v_fma_f64 v[6:7], v[116:117], s[8:9], v[248:249]
	v_fma_f64 v[14:15], v[128:129], s[8:9], -v[250:251]
	v_fma_f64 v[16:17], v[130:131], s[30:31], v[188:189]
	s_delay_alu instid0(VALU_DEP_3) | instskip(NEXT) | instid1(VALU_DEP_3)
	v_add_f64 v[6:7], v[6:7], v[140:141]
	v_add_f64 v[14:15], v[14:15], v[138:139]
	s_delay_alu instid0(VALU_DEP_2) | instskip(SKIP_1) | instid1(VALU_DEP_2)
	v_add_f64 v[6:7], v[16:17], v[6:7]
	v_fma_f64 v[16:17], v[162:163], s[30:31], -v[252:253]
	v_add_f64 v[0:1], v[0:1], v[6:7]
	s_delay_alu instid0(VALU_DEP_2) | instskip(SKIP_2) | instid1(VALU_DEP_3)
	v_add_f64 v[14:15], v[16:17], v[14:15]
	v_fma_f64 v[6:7], v[206:207], s[0:1], v[8:9]
	v_mul_f64 v[8:9], v[144:145], s[26:27]
	v_add_f64 v[4:5], v[4:5], v[14:15]
	s_delay_alu instid0(VALU_DEP_3) | instskip(SKIP_1) | instid1(VALU_DEP_4)
	v_add_f64 v[0:1], v[6:7], v[0:1]
	v_fma_f64 v[6:7], v[212:213], s[0:1], -v[10:11]
	v_fma_f64 v[10:11], v[130:131], s[18:19], -v[8:9]
	s_delay_alu instid0(VALU_DEP_2) | instskip(SKIP_1) | instid1(VALU_DEP_2)
	v_add_f64 v[4:5], v[6:7], v[4:5]
	v_fma_f64 v[6:7], v[218:219], s[16:17], v[12:13]
	v_add_f64 v[140:141], v[2:3], v[4:5]
	s_delay_alu instid0(VALU_DEP_2) | instskip(SKIP_4) | instid1(VALU_DEP_4)
	v_add_f64 v[138:139], v[6:7], v[0:1]
	v_fma_f64 v[0:1], v[116:117], s[0:1], v[228:229]
	v_fma_f64 v[2:3], v[128:129], s[0:1], -v[230:231]
	v_fma_f64 v[4:5], v[130:131], s[10:11], v[232:233]
	v_fma_f64 v[6:7], v[224:225], s[8:9], -v[246:247]
	v_add_f64 v[0:1], v[0:1], v[136:137]
	s_delay_alu instid0(VALU_DEP_4) | instskip(NEXT) | instid1(VALU_DEP_2)
	v_add_f64 v[2:3], v[2:3], v[134:135]
	v_add_f64 v[0:1], v[4:5], v[0:1]
	v_fma_f64 v[4:5], v[162:163], s[10:11], -v[234:235]
	s_delay_alu instid0(VALU_DEP_1) | instskip(SKIP_1) | instid1(VALU_DEP_1)
	v_add_f64 v[2:3], v[4:5], v[2:3]
	v_fma_f64 v[4:5], v[164:165], s[30:31], v[236:237]
	v_add_f64 v[0:1], v[4:5], v[0:1]
	v_fma_f64 v[4:5], v[200:201], s[30:31], -v[238:239]
	s_delay_alu instid0(VALU_DEP_1) | instskip(SKIP_1) | instid1(VALU_DEP_1)
	v_add_f64 v[2:3], v[4:5], v[2:3]
	v_fma_f64 v[4:5], v[206:207], s[16:17], v[240:241]
	v_add_f64 v[0:1], v[4:5], v[0:1]
	v_fma_f64 v[4:5], v[212:213], s[16:17], -v[242:243]
	s_delay_alu instid0(VALU_DEP_1) | instskip(SKIP_1) | instid1(VALU_DEP_2)
	v_add_f64 v[2:3], v[4:5], v[2:3]
	v_fma_f64 v[4:5], v[218:219], s[8:9], v[244:245]
	v_add_f64 v[136:137], v[6:7], v[2:3]
	s_delay_alu instid0(VALU_DEP_2) | instskip(SKIP_4) | instid1(VALU_DEP_4)
	v_add_f64 v[134:135], v[4:5], v[0:1]
	v_fma_f64 v[0:1], v[116:117], s[10:11], v[132:133]
	v_fma_f64 v[2:3], v[128:129], s[10:11], -v[150:151]
	v_fma_f64 v[4:5], v[130:131], s[0:1], v[152:153]
	v_fma_f64 v[6:7], v[224:225], s[30:31], -v[226:227]
	v_add_f64 v[0:1], v[0:1], v[126:127]
	s_delay_alu instid0(VALU_DEP_4) | instskip(NEXT) | instid1(VALU_DEP_2)
	v_add_f64 v[2:3], v[2:3], v[122:123]
	v_add_f64 v[0:1], v[4:5], v[0:1]
	v_fma_f64 v[4:5], v[162:163], s[0:1], -v[192:193]
	s_delay_alu instid0(VALU_DEP_1) | instskip(SKIP_1) | instid1(VALU_DEP_1)
	v_add_f64 v[2:3], v[4:5], v[2:3]
	v_fma_f64 v[4:5], v[164:165], s[8:9], v[196:197]
	v_add_f64 v[0:1], v[4:5], v[0:1]
	v_fma_f64 v[4:5], v[200:201], s[8:9], -v[202:203]
	s_delay_alu instid0(VALU_DEP_1) | instskip(SKIP_1) | instid1(VALU_DEP_1)
	v_add_f64 v[2:3], v[4:5], v[2:3]
	v_fma_f64 v[4:5], v[206:207], s[18:19], v[208:209]
	v_add_f64 v[0:1], v[4:5], v[0:1]
	v_fma_f64 v[4:5], v[212:213], s[18:19], -v[214:215]
	s_delay_alu instid0(VALU_DEP_1) | instskip(SKIP_1) | instid1(VALU_DEP_2)
	v_add_f64 v[2:3], v[4:5], v[2:3]
	v_fma_f64 v[4:5], v[218:219], s[30:31], v[220:221]
	v_add_f64 v[152:153], v[6:7], v[2:3]
	s_delay_alu instid0(VALU_DEP_2) | instskip(SKIP_2) | instid1(VALU_DEP_2)
	v_add_f64 v[150:151], v[4:5], v[0:1]
	v_mul_f64 v[0:1], v[124:125], s[28:29]
	v_mul_f64 v[4:5], v[142:143], s[28:29]
	v_fma_f64 v[2:3], v[116:117], s[16:17], -v[0:1]
	s_delay_alu instid0(VALU_DEP_2) | instskip(SKIP_1) | instid1(VALU_DEP_3)
	v_fma_f64 v[6:7], v[128:129], s[16:17], v[4:5]
	v_fma_f64 v[0:1], v[116:117], s[16:17], v[0:1]
	v_add_f64 v[2:3], v[2:3], v[120:121]
	s_delay_alu instid0(VALU_DEP_3) | instskip(NEXT) | instid1(VALU_DEP_3)
	v_add_f64 v[6:7], v[6:7], v[118:119]
	v_add_f64 v[0:1], v[0:1], v[112:113]
	s_delay_alu instid0(VALU_DEP_3) | instskip(SKIP_1) | instid1(VALU_DEP_1)
	v_add_f64 v[2:3], v[10:11], v[2:3]
	v_mul_f64 v[10:11], v[190:191], s[26:27]
	v_fma_f64 v[12:13], v[162:163], s[18:19], v[10:11]
	s_delay_alu instid0(VALU_DEP_1) | instskip(SKIP_1) | instid1(VALU_DEP_1)
	v_add_f64 v[6:7], v[12:13], v[6:7]
	v_mul_f64 v[12:13], v[194:195], s[24:25]
	v_fma_f64 v[14:15], v[164:165], s[10:11], -v[12:13]
	s_delay_alu instid0(VALU_DEP_1) | instskip(SKIP_1) | instid1(VALU_DEP_1)
	v_add_f64 v[2:3], v[14:15], v[2:3]
	v_mul_f64 v[14:15], v[198:199], s[24:25]
	v_fma_f64 v[16:17], v[200:201], s[10:11], v[14:15]
	s_delay_alu instid0(VALU_DEP_1) | instskip(SKIP_1) | instid1(VALU_DEP_1)
	v_add_f64 v[6:7], v[16:17], v[6:7]
	v_mul_f64 v[16:17], v[204:205], s[22:23]
	v_fma_f64 v[18:19], v[206:207], s[8:9], -v[16:17]
	s_delay_alu instid0(VALU_DEP_1) | instskip(SKIP_1) | instid1(VALU_DEP_1)
	;; [unrolled: 8-line block ×3, first 2 shown]
	v_add_f64 v[118:119], v[32:33], v[2:3]
	v_fma_f64 v[2:3], v[224:225], s[0:1], v[22:23]
	v_add_f64 v[120:121], v[2:3], v[6:7]
	scratch_load_b64 v[2:3], off, off offset:44 ; 8-byte Folded Reload
	v_add_f64 v[6:7], v[110:111], v[66:67]
	s_waitcnt vmcnt(0)
	s_waitcnt_vscnt null, 0x0
	s_barrier
	buffer_gl0_inv
	v_add_f64 v[6:7], v[6:7], v[74:75]
	s_delay_alu instid0(VALU_DEP_1) | instskip(NEXT) | instid1(VALU_DEP_1)
	v_add_f64 v[6:7], v[6:7], v[80:81]
	v_add_f64 v[6:7], v[6:7], v[86:87]
	s_delay_alu instid0(VALU_DEP_1) | instskip(NEXT) | instid1(VALU_DEP_1)
	v_add_f64 v[6:7], v[6:7], v[90:91]
	v_add_f64 v[6:7], v[6:7], v[94:95]
	s_delay_alu instid0(VALU_DEP_1) | instskip(NEXT) | instid1(VALU_DEP_1)
	v_add_f64 v[6:7], v[6:7], v[106:107]
	v_add_f64 v[6:7], v[6:7], v[76:77]
	s_delay_alu instid0(VALU_DEP_1) | instskip(SKIP_1) | instid1(VALU_DEP_2)
	v_add_f64 v[6:7], v[6:7], v[68:69]
	v_add_f64 v[2:3], v[2:3], v[64:65]
	;; [unrolled: 1-line block ×3, first 2 shown]
	s_delay_alu instid0(VALU_DEP_2) | instskip(NEXT) | instid1(VALU_DEP_2)
	v_add_f64 v[2:3], v[2:3], v[72:73]
	v_add_f64 v[26:27], v[6:7], v[26:27]
	v_fma_f64 v[6:7], v[162:163], s[18:19], -v[10:11]
	v_fma_f64 v[10:11], v[200:201], s[10:11], -v[14:15]
	s_delay_alu instid0(VALU_DEP_4) | instskip(NEXT) | instid1(VALU_DEP_1)
	v_add_f64 v[2:3], v[2:3], v[82:83]
	v_add_f64 v[2:3], v[2:3], v[84:85]
	s_delay_alu instid0(VALU_DEP_1) | instskip(NEXT) | instid1(VALU_DEP_1)
	v_add_f64 v[2:3], v[2:3], v[88:89]
	v_add_f64 v[2:3], v[2:3], v[92:93]
	s_delay_alu instid0(VALU_DEP_1) | instskip(NEXT) | instid1(VALU_DEP_1)
	;; [unrolled: 3-line block ×3, first 2 shown]
	v_add_f64 v[2:3], v[2:3], v[70:71]
	v_add_f64 v[2:3], v[2:3], v[30:31]
	s_delay_alu instid0(VALU_DEP_1) | instskip(SKIP_3) | instid1(VALU_DEP_3)
	v_add_f64 v[24:25], v[2:3], v[24:25]
	v_fma_f64 v[2:3], v[128:129], s[16:17], -v[4:5]
	v_fma_f64 v[4:5], v[130:131], s[18:19], v[8:9]
	v_fma_f64 v[8:9], v[164:165], s[10:11], v[12:13]
	v_add_f64 v[2:3], v[2:3], v[114:115]
	s_delay_alu instid0(VALU_DEP_3) | instskip(SKIP_1) | instid1(VALU_DEP_3)
	v_add_f64 v[0:1], v[4:5], v[0:1]
	v_fma_f64 v[4:5], v[206:207], s[8:9], v[16:17]
	v_add_f64 v[2:3], v[6:7], v[2:3]
	v_fma_f64 v[6:7], v[212:213], s[8:9], -v[18:19]
	s_delay_alu instid0(VALU_DEP_4) | instskip(SKIP_1) | instid1(VALU_DEP_4)
	v_add_f64 v[0:1], v[8:9], v[0:1]
	v_fma_f64 v[8:9], v[218:219], s[0:1], v[20:21]
	v_add_f64 v[2:3], v[10:11], v[2:3]
	v_fma_f64 v[10:11], v[224:225], s[0:1], -v[22:23]
	s_delay_alu instid0(VALU_DEP_4) | instskip(SKIP_1) | instid1(VALU_DEP_4)
	v_add_f64 v[0:1], v[4:5], v[0:1]
	v_cmp_gt_u16_e64 s0, 17, v254
	v_add_f64 v[2:3], v[6:7], v[2:3]
	s_delay_alu instid0(VALU_DEP_3) | instskip(SKIP_1) | instid1(VALU_DEP_1)
	v_add_f64 v[104:105], v[8:9], v[0:1]
	v_and_b32_e32 v0, 0xffff, v168
	v_mul_u32_u24_e32 v0, 0xdd, v0
	s_delay_alu instid0(VALU_DEP_1)
	v_add_lshl_u32 v168, v0, v171, 4
	ds_store_b128 v168, v[172:175] offset:544
	ds_store_b128 v168, v[176:179] offset:816
	;; [unrolled: 1-line block ×11, first 2 shown]
	ds_store_b128 v168, v[24:27]
	v_add_f64 v[106:107], v[10:11], v[2:3]
	ds_store_b128 v168, v[104:107] offset:3264
	s_waitcnt lgkmcnt(0)
	s_barrier
	buffer_gl0_inv
	ds_load_b128 v[120:123], v255
	ds_load_b128 v[112:115], v255 offset:816
	ds_load_b128 v[148:151], v255 offset:3536
	;; [unrolled: 1-line block ×11, first 2 shown]
	s_and_saveexec_b32 s1, s0
	s_cbranch_execz .LBB0_9
; %bb.8:
	ds_load_b128 v[104:107], v255 offset:3264
	ds_load_b128 v[100:103], v255 offset:6800
	;; [unrolled: 1-line block ×3, first 2 shown]
.LBB0_9:
	s_or_b32 exec_lo, exec_lo, s1
	scratch_load_b32 v4, off, off           ; 4-byte Folded Reload
	s_mov_b32 s9, 0xbfebb67a
	s_waitcnt vmcnt(0)
	v_add_co_u32 v0, s1, 0xcc, v4
	s_delay_alu instid0(VALU_DEP_1) | instskip(SKIP_1) | instid1(VALU_DEP_1)
	v_add_co_ci_u32_e64 v1, null, 0, 0, s1
	v_add_co_u32 v2, s1, 0xffffffef, v4
	v_add_co_ci_u32_e64 v3, null, 0, -1, s1
	v_lshlrev_b32_e32 v4, 5, v4
	s_delay_alu instid0(VALU_DEP_3) | instskip(NEXT) | instid1(VALU_DEP_3)
	v_cndmask_b32_e64 v0, v2, v0, s0
	v_cndmask_b32_e64 v1, v3, v1, s0
	s_delay_alu instid0(VALU_DEP_3)
	v_add_nc_u32_e32 v2, 0x660, v4
	v_add_nc_u32_e32 v3, 0xcc0, v4
	s_clause 0x1
	global_load_b128 v[64:67], v4, s[2:3] offset:3264
	global_load_b128 v[52:55], v4, s[2:3] offset:3280
	v_lshlrev_b64 v[0:1], 5, v[0:1]
	s_clause 0x3
	global_load_b128 v[68:71], v2, s[2:3] offset:3280
	global_load_b128 v[92:95], v2, s[2:3] offset:3264
	;; [unrolled: 1-line block ×4, first 2 shown]
	v_add_nc_u32_e32 v2, 0x1320, v4
	v_add_co_u32 v0, s1, s2, v0
	s_delay_alu instid0(VALU_DEP_1)
	v_add_co_ci_u32_e64 v1, s1, s3, v1, s1
	s_clause 0x3
	global_load_b128 v[88:91], v2, s[2:3] offset:3264
	global_load_b128 v[72:75], v2, s[2:3] offset:3280
	global_load_b128 v[28:31], v[0:1], off offset:3264
	global_load_b128 v[24:27], v[0:1], off offset:3280
	s_mov_b32 s2, 0xe8584caa
	s_mov_b32 s3, 0x3febb67a
	;; [unrolled: 1-line block ×3, first 2 shown]
	s_waitcnt vmcnt(9) lgkmcnt(9)
	v_mul_f64 v[0:1], v[150:151], v[66:67]
	s_waitcnt vmcnt(8) lgkmcnt(7)
	v_mul_f64 v[2:3], v[154:155], v[54:55]
	v_mul_f64 v[4:5], v[148:149], v[66:67]
	;; [unrolled: 1-line block ×3, first 2 shown]
	s_waitcnt vmcnt(6)
	v_mul_f64 v[8:9], v[134:135], v[94:95]
	s_waitcnt lgkmcnt(6)
	v_mul_f64 v[10:11], v[138:139], v[70:71]
	v_mul_f64 v[12:13], v[132:133], v[94:95]
	;; [unrolled: 1-line block ×3, first 2 shown]
	s_waitcnt vmcnt(4) lgkmcnt(3)
	v_mul_f64 v[16:17], v[142:143], v[86:87]
	s_waitcnt lgkmcnt(1)
	v_mul_f64 v[18:19], v[146:147], v[50:51]
	v_mul_f64 v[20:21], v[140:141], v[86:87]
	;; [unrolled: 1-line block ×3, first 2 shown]
	s_waitcnt vmcnt(3)
	v_mul_f64 v[32:33], v[126:127], v[90:91]
	s_waitcnt vmcnt(2) lgkmcnt(0)
	v_mul_f64 v[34:35], v[130:131], v[74:75]
	v_mul_f64 v[36:37], v[124:125], v[90:91]
	;; [unrolled: 1-line block ×3, first 2 shown]
	s_waitcnt vmcnt(1)
	v_mul_f64 v[40:41], v[102:103], v[30:31]
	s_waitcnt vmcnt(0)
	v_mul_f64 v[42:43], v[98:99], v[26:27]
	v_mul_f64 v[44:45], v[100:101], v[30:31]
	;; [unrolled: 1-line block ×3, first 2 shown]
	s_clause 0x6
	scratch_store_b128 off, v[52:55], off offset:252
	scratch_store_b128 off, v[48:51], off offset:236
	;; [unrolled: 1-line block ×7, first 2 shown]
	v_fma_f64 v[0:1], v[148:149], v[64:65], -v[0:1]
	v_fma_f64 v[2:3], v[152:153], v[52:53], -v[2:3]
	v_fma_f64 v[4:5], v[150:151], v[64:65], v[4:5]
	v_fma_f64 v[6:7], v[154:155], v[52:53], v[6:7]
	v_fma_f64 v[8:9], v[132:133], v[92:93], -v[8:9]
	v_fma_f64 v[10:11], v[136:137], v[68:69], -v[10:11]
	v_fma_f64 v[12:13], v[134:135], v[92:93], v[12:13]
	v_fma_f64 v[14:15], v[138:139], v[68:69], v[14:15]
	;; [unrolled: 4-line block ×5, first 2 shown]
	v_add_f64 v[128:129], v[120:121], v[0:1]
	v_add_f64 v[48:49], v[0:1], v[2:3]
	v_add_f64 v[0:1], v[0:1], -v[2:3]
	v_add_f64 v[50:51], v[4:5], v[6:7]
	v_add_f64 v[134:135], v[4:5], -v[6:7]
	v_add_f64 v[52:53], v[8:9], v[10:11]
	v_add_f64 v[4:5], v[122:123], v[4:5]
	;; [unrolled: 1-line block ×17, first 2 shown]
	v_add_f64 v[12:13], v[12:13], -v[14:15]
	v_add_f64 v[8:9], v[8:9], -v[10:11]
	;; [unrolled: 1-line block ×8, first 2 shown]
	v_fma_f64 v[48:49], v[48:49], -0.5, v[120:121]
	v_fma_f64 v[50:51], v[50:51], -0.5, v[122:123]
	;; [unrolled: 1-line block ×4, first 2 shown]
	v_add_f64 v[136:137], v[130:131], v[10:11]
	v_fma_f64 v[96:97], v[96:97], -0.5, v[116:117]
	v_add_f64 v[138:139], v[132:133], v[14:15]
	v_fma_f64 v[98:99], v[98:99], -0.5, v[118:119]
	;; [unrolled: 2-line block ×4, first 2 shown]
	v_fma_f64 v[108:109], v[124:125], -0.5, v[104:105]
	v_add_f64 v[104:105], v[128:129], v[2:3]
	v_fma_f64 v[110:111], v[126:127], -0.5, v[106:107]
	v_add_f64 v[106:107], v[4:5], v[6:7]
	v_add_f64 v[128:129], v[144:145], v[34:35]
	;; [unrolled: 1-line block ×5, first 2 shown]
	v_fma_f64 v[132:133], v[134:135], s[2:3], v[48:49]
	v_fma_f64 v[140:141], v[134:135], s[8:9], v[48:49]
	;; [unrolled: 1-line block ×20, first 2 shown]
	ds_store_b128 v255, v[104:107]
	ds_store_b128 v255, v[136:139] offset:816
	ds_store_b128 v255, v[132:135] offset:3536
	;; [unrolled: 1-line block ×11, first 2 shown]
	s_and_saveexec_b32 s1, s0
	s_cbranch_execz .LBB0_11
; %bb.10:
	ds_store_b128 v255, v[116:119] offset:3264
	ds_store_b128 v255, v[112:115] offset:6800
	;; [unrolled: 1-line block ×3, first 2 shown]
.LBB0_11:
	s_or_b32 exec_lo, exec_lo, s1
	s_waitcnt lgkmcnt(0)
	s_waitcnt_vscnt null, 0x0
	s_barrier
	buffer_gl0_inv
	s_and_saveexec_b32 s2, vcc_lo
	s_cbranch_execz .LBB0_13
; %bb.12:
	v_add_co_u32 v171, s1, s12, v255
	s_delay_alu instid0(VALU_DEP_1) | instskip(NEXT) | instid1(VALU_DEP_2)
	v_add_co_ci_u32_e64 v172, null, s13, 0, s1
	v_add_co_u32 v0, s1, 0x2000, v171
	s_delay_alu instid0(VALU_DEP_1) | instskip(SKIP_1) | instid1(VALU_DEP_1)
	v_add_co_ci_u32_e64 v1, s1, 0, v172, s1
	v_add_co_u32 v169, s1, 0x2970, v171
	v_add_co_ci_u32_e64 v170, s1, 0, v172, s1
	global_load_b128 v[96:99], v[0:1], off offset:2416
	v_add_co_u32 v0, s1, 0x3000, v171
	s_clause 0x1
	global_load_b128 v[100:103], v[169:170], off offset:624
	global_load_b128 v[164:167], v[169:170], off offset:1248
	ds_load_b128 v[173:176], v255
	ds_load_b128 v[177:180], v255 offset:624
	ds_load_b128 v[185:188], v255 offset:1248
	v_add_co_ci_u32_e64 v1, s1, 0, v172, s1
	global_load_b128 v[181:184], v[0:1], off offset:2688
	s_waitcnt vmcnt(3) lgkmcnt(2)
	v_mul_f64 v[2:3], v[175:176], v[98:99]
	v_mul_f64 v[4:5], v[173:174], v[98:99]
	s_waitcnt vmcnt(2) lgkmcnt(1)
	v_mul_f64 v[6:7], v[179:180], v[102:103]
	v_mul_f64 v[8:9], v[177:178], v[102:103]
	s_delay_alu instid0(VALU_DEP_4) | instskip(NEXT) | instid1(VALU_DEP_4)
	v_fma_f64 v[173:174], v[173:174], v[96:97], -v[2:3]
	v_fma_f64 v[175:176], v[175:176], v[96:97], v[4:5]
	global_load_b128 v[96:99], v[169:170], off offset:1872
	v_fma_f64 v[177:178], v[177:178], v[100:101], -v[6:7]
	v_fma_f64 v[179:180], v[179:180], v[100:101], v[8:9]
	ds_load_b128 v[100:103], v255 offset:1872
	s_waitcnt vmcnt(2) lgkmcnt(1)
	v_mul_f64 v[2:3], v[187:188], v[166:167]
	v_mul_f64 v[4:5], v[185:186], v[166:167]
	s_delay_alu instid0(VALU_DEP_2) | instskip(NEXT) | instid1(VALU_DEP_2)
	v_fma_f64 v[185:186], v[185:186], v[164:165], -v[2:3]
	v_fma_f64 v[187:188], v[187:188], v[164:165], v[4:5]
	global_load_b128 v[164:167], v[169:170], off offset:2496
	ds_load_b128 v[189:192], v255 offset:2496
	ds_load_b128 v[193:196], v255 offset:3120
	s_waitcnt vmcnt(1) lgkmcnt(2)
	v_mul_f64 v[2:3], v[102:103], v[98:99]
	v_mul_f64 v[4:5], v[100:101], v[98:99]
	s_delay_alu instid0(VALU_DEP_2) | instskip(NEXT) | instid1(VALU_DEP_2)
	v_fma_f64 v[98:99], v[100:101], v[96:97], -v[2:3]
	v_fma_f64 v[100:101], v[102:103], v[96:97], v[4:5]
	s_waitcnt vmcnt(0) lgkmcnt(1)
	v_mul_f64 v[2:3], v[191:192], v[166:167]
	v_mul_f64 v[4:5], v[189:190], v[166:167]
	s_delay_alu instid0(VALU_DEP_2) | instskip(NEXT) | instid1(VALU_DEP_2)
	v_fma_f64 v[189:190], v[189:190], v[164:165], -v[2:3]
	v_fma_f64 v[191:192], v[191:192], v[164:165], v[4:5]
	s_clause 0x1
	global_load_b128 v[164:167], v[169:170], off offset:3120
	global_load_b128 v[197:200], v[169:170], off offset:3744
	s_waitcnt vmcnt(1) lgkmcnt(0)
	v_mul_f64 v[2:3], v[195:196], v[166:167]
	v_mul_f64 v[4:5], v[193:194], v[166:167]
	s_delay_alu instid0(VALU_DEP_2) | instskip(NEXT) | instid1(VALU_DEP_2)
	v_fma_f64 v[193:194], v[193:194], v[164:165], -v[2:3]
	v_fma_f64 v[195:196], v[195:196], v[164:165], v[4:5]
	ds_load_b128 v[164:167], v255 offset:3744
	ds_load_b128 v[201:204], v255 offset:4368
	s_waitcnt vmcnt(0) lgkmcnt(1)
	v_mul_f64 v[2:3], v[166:167], v[199:200]
	v_mul_f64 v[4:5], v[164:165], v[199:200]
	s_delay_alu instid0(VALU_DEP_2) | instskip(NEXT) | instid1(VALU_DEP_2)
	v_fma_f64 v[164:165], v[164:165], v[197:198], -v[2:3]
	v_fma_f64 v[166:167], v[166:167], v[197:198], v[4:5]
	s_waitcnt lgkmcnt(0)
	v_mul_f64 v[2:3], v[203:204], v[183:184]
	v_mul_f64 v[4:5], v[201:202], v[183:184]
	s_delay_alu instid0(VALU_DEP_2) | instskip(NEXT) | instid1(VALU_DEP_2)
	v_fma_f64 v[197:198], v[201:202], v[181:182], -v[2:3]
	v_fma_f64 v[199:200], v[203:204], v[181:182], v[4:5]
	s_clause 0x1
	global_load_b128 v[181:184], v[0:1], off offset:3312
	global_load_b128 v[201:204], v[0:1], off offset:3936
	ds_load_b128 v[205:208], v255 offset:4992
	ds_load_b128 v[209:212], v255 offset:5616
	s_waitcnt vmcnt(1) lgkmcnt(1)
	v_mul_f64 v[0:1], v[207:208], v[183:184]
	v_mul_f64 v[2:3], v[205:206], v[183:184]
	s_delay_alu instid0(VALU_DEP_2) | instskip(SKIP_2) | instid1(VALU_DEP_3)
	v_fma_f64 v[205:206], v[205:206], v[181:182], -v[0:1]
	s_waitcnt vmcnt(0) lgkmcnt(0)
	v_mul_f64 v[0:1], v[211:212], v[203:204]
	v_fma_f64 v[207:208], v[207:208], v[181:182], v[2:3]
	v_mul_f64 v[2:3], v[209:210], v[203:204]
	s_delay_alu instid0(VALU_DEP_3) | instskip(SKIP_1) | instid1(VALU_DEP_1)
	v_fma_f64 v[181:182], v[209:210], v[201:202], -v[0:1]
	v_add_co_u32 v0, s1, 0x4000, v171
	v_add_co_ci_u32_e64 v1, s1, 0, v172, s1
	s_delay_alu instid0(VALU_DEP_4)
	v_fma_f64 v[183:184], v[211:212], v[201:202], v[2:3]
	s_clause 0x1
	global_load_b128 v[201:204], v[0:1], off offset:464
	global_load_b128 v[209:212], v[0:1], off offset:1088
	ds_load_b128 v[213:216], v255 offset:6240
	ds_load_b128 v[217:220], v255 offset:6864
	s_waitcnt vmcnt(1) lgkmcnt(1)
	v_mul_f64 v[2:3], v[215:216], v[203:204]
	v_mul_f64 v[4:5], v[213:214], v[203:204]
	s_delay_alu instid0(VALU_DEP_2) | instskip(NEXT) | instid1(VALU_DEP_2)
	v_fma_f64 v[213:214], v[213:214], v[201:202], -v[2:3]
	v_fma_f64 v[215:216], v[215:216], v[201:202], v[4:5]
	s_waitcnt vmcnt(0) lgkmcnt(0)
	v_mul_f64 v[2:3], v[219:220], v[211:212]
	v_mul_f64 v[4:5], v[217:218], v[211:212]
	s_delay_alu instid0(VALU_DEP_2) | instskip(NEXT) | instid1(VALU_DEP_2)
	v_fma_f64 v[201:202], v[217:218], v[209:210], -v[2:3]
	v_fma_f64 v[203:204], v[219:220], v[209:210], v[4:5]
	s_clause 0x1
	global_load_b128 v[209:212], v[0:1], off offset:1712
	global_load_b128 v[217:220], v[0:1], off offset:2336
	ds_load_b128 v[221:224], v255 offset:7488
	ds_load_b128 v[225:228], v255 offset:8112
	s_waitcnt vmcnt(1) lgkmcnt(1)
	v_mul_f64 v[2:3], v[223:224], v[211:212]
	v_mul_f64 v[4:5], v[221:222], v[211:212]
	s_delay_alu instid0(VALU_DEP_2) | instskip(NEXT) | instid1(VALU_DEP_2)
	v_fma_f64 v[221:222], v[221:222], v[209:210], -v[2:3]
	v_fma_f64 v[223:224], v[223:224], v[209:210], v[4:5]
	s_waitcnt vmcnt(0) lgkmcnt(0)
	v_mul_f64 v[2:3], v[227:228], v[219:220]
	v_mul_f64 v[4:5], v[225:226], v[219:220]
	s_delay_alu instid0(VALU_DEP_2) | instskip(NEXT) | instid1(VALU_DEP_2)
	v_fma_f64 v[209:210], v[225:226], v[217:218], -v[2:3]
	v_fma_f64 v[211:212], v[227:228], v[217:218], v[4:5]
	s_clause 0x1
	global_load_b128 v[217:220], v[0:1], off offset:2960
	global_load_b128 v[225:228], v[0:1], off offset:3584
	ds_load_b128 v[229:232], v255 offset:8736
	ds_load_b128 v[233:236], v255 offset:9360
	s_waitcnt vmcnt(1) lgkmcnt(1)
	v_mul_f64 v[0:1], v[231:232], v[219:220]
	v_mul_f64 v[2:3], v[229:230], v[219:220]
	s_delay_alu instid0(VALU_DEP_2) | instskip(SKIP_2) | instid1(VALU_DEP_3)
	v_fma_f64 v[229:230], v[229:230], v[217:218], -v[0:1]
	s_waitcnt vmcnt(0) lgkmcnt(0)
	v_mul_f64 v[0:1], v[235:236], v[227:228]
	v_fma_f64 v[231:232], v[231:232], v[217:218], v[2:3]
	v_mul_f64 v[2:3], v[233:234], v[227:228]
	s_delay_alu instid0(VALU_DEP_3) | instskip(SKIP_1) | instid1(VALU_DEP_1)
	v_fma_f64 v[217:218], v[233:234], v[225:226], -v[0:1]
	v_add_co_u32 v0, s1, 0x5000, v171
	v_add_co_ci_u32_e64 v1, s1, 0, v172, s1
	s_delay_alu instid0(VALU_DEP_4)
	v_fma_f64 v[219:220], v[235:236], v[225:226], v[2:3]
	ds_load_b128 v[225:228], v255 offset:9984
	global_load_b128 v[169:172], v[0:1], off offset:112
	s_waitcnt vmcnt(0) lgkmcnt(0)
	v_mul_f64 v[0:1], v[227:228], v[171:172]
	v_mul_f64 v[2:3], v[225:226], v[171:172]
	s_delay_alu instid0(VALU_DEP_2) | instskip(NEXT) | instid1(VALU_DEP_2)
	v_fma_f64 v[225:226], v[225:226], v[169:170], -v[0:1]
	v_fma_f64 v[227:228], v[227:228], v[169:170], v[2:3]
	ds_store_b128 v255, v[173:176]
	ds_store_b128 v255, v[177:180] offset:624
	ds_store_b128 v255, v[185:188] offset:1248
	;; [unrolled: 1-line block ×16, first 2 shown]
.LBB0_13:
	s_or_b32 exec_lo, exec_lo, s2
	s_waitcnt lgkmcnt(0)
	s_barrier
	buffer_gl0_inv
	s_and_saveexec_b32 s1, vcc_lo
	s_cbranch_execz .LBB0_15
; %bb.14:
	ds_load_b128 v[104:107], v255
	ds_load_b128 v[132:135], v255 offset:624
	ds_load_b128 v[140:143], v255 offset:1248
	;; [unrolled: 1-line block ×15, first 2 shown]
	s_waitcnt lgkmcnt(0)
	scratch_store_b128 off, v[0:3], off offset:28 ; 16-byte Folded Spill
	ds_load_b128 v[0:3], v255 offset:9984
	s_waitcnt lgkmcnt(0)
	scratch_store_b128 off, v[0:3], off offset:12 ; 16-byte Folded Spill
.LBB0_15:
	s_or_b32 exec_lo, exec_lo, s1
	s_clause 0x1
	scratch_load_b128 v[6:9], off, off offset:12
	scratch_load_b128 v[10:13], off, off offset:28
	s_mov_b32 s10, 0x7c9e640b
	s_mov_b32 s11, 0xbfeca52d
	;; [unrolled: 1-line block ×8, first 2 shown]
	v_add_f64 v[177:178], v[138:139], -v[110:111]
	s_mov_b32 s22, 0xacd6c6b4
	s_mov_b32 s23, 0xbfc7851a
	s_mov_b32 s47, 0x3fc7851a
	s_mov_b32 s46, s22
	v_add_f64 v[169:170], v[136:137], v[108:109]
	v_add_f64 v[173:174], v[138:139], v[110:111]
	s_mov_b32 s18, 0x7faef3
	s_mov_b32 s19, 0xbfef7484
	v_add_f64 v[191:192], v[136:137], -v[108:109]
	v_add_f64 v[187:188], v[150:151], -v[114:115]
	s_mov_b32 s28, 0x923c349f
	s_mov_b32 s29, 0x3feec746
	v_add_f64 v[175:176], v[148:149], v[112:113]
	v_add_f64 v[181:182], v[150:151], v[114:115]
	s_mov_b32 s20, 0xc61f0d01
	s_mov_b32 s21, 0xbfd183b1
	v_add_f64 v[205:206], v[148:149], -v[112:113]
	v_add_f64 v[201:202], v[158:159], -v[118:119]
	s_mov_b32 s36, 0x2a9d6da3
	s_mov_b32 s37, 0x3fe58eea
	;; [unrolled: 8-line block ×3, first 2 shown]
	s_mov_b32 s39, 0xbfd71e95
	s_mov_b32 s38, s40
	v_add_f64 v[189:190], v[152:153], v[120:121]
	v_add_f64 v[193:194], v[154:155], v[122:123]
	s_mov_b32 s26, 0x370991
	s_mov_b32 s27, 0x3fedd6d0
	v_add_f64 v[213:214], v[152:153], -v[120:121]
	v_add_f64 v[211:212], v[162:163], -v[126:127]
	s_mov_b32 s42, 0xeb564b22
	v_mul_f64 v[28:29], v[177:178], s[46:47]
	s_mov_b32 s43, 0xbfefdd0d
	v_add_f64 v[195:196], v[160:161], v[124:125]
	v_add_f64 v[197:198], v[162:163], v[126:127]
	s_mov_b32 s30, 0x3259b75e
	s_mov_b32 s31, 0x3fb79ee6
	v_mul_f64 v[64:65], v[173:174], s[18:19]
	v_add_f64 v[217:218], v[160:161], -v[124:125]
	v_add_f64 v[215:216], v[146:147], -v[130:131]
	s_mov_b32 s44, 0x4363dd80
	v_mul_f64 v[30:31], v[187:188], s[28:29]
	s_mov_b32 s45, 0xbfe0d888
	v_add_f64 v[199:200], v[144:145], v[128:129]
	v_add_f64 v[203:204], v[146:147], v[130:131]
	v_mul_f64 v[66:67], v[181:182], s[20:21]
	s_mov_b32 s34, 0x910ea3b9
	s_mov_b32 s35, 0xbfeb34fa
	v_add_f64 v[219:220], v[144:145], -v[128:129]
	v_mul_f64 v[68:69], v[201:202], s[36:37]
	v_mul_f64 v[82:83], v[177:178], s[28:29]
	;; [unrolled: 1-line block ×10, first 2 shown]
	s_mov_b32 s49, 0x3fe9895b
	s_mov_b32 s48, s16
	v_mul_f64 v[78:79], v[193:194], s[26:27]
	v_mul_f64 v[221:222], v[193:194], s[34:35]
	;; [unrolled: 1-line block ×10, first 2 shown]
	s_waitcnt vmcnt(1)
	v_add_f64 v[229:230], v[134:135], -v[8:9]
	v_add_f64 v[227:228], v[132:133], v[6:7]
	s_waitcnt vmcnt(0)
	v_add_f64 v[171:172], v[142:143], -v[12:13]
	v_add_f64 v[164:165], v[140:141], v[10:11]
	v_add_f64 v[245:246], v[134:135], v[8:9]
	v_add_f64 v[253:254], v[132:133], -v[6:7]
	v_add_f64 v[166:167], v[142:143], v[12:13]
	v_add_f64 v[179:180], v[140:141], -v[10:11]
	v_mul_f64 v[18:19], v[229:230], s[10:11]
	v_mul_f64 v[233:234], v[229:230], s[42:43]
	;; [unrolled: 1-line block ×8, first 2 shown]
	v_fma_f64 v[0:1], v[227:228], s[2:3], -v[18:19]
	v_fma_f64 v[2:3], v[164:165], s[8:9], -v[24:25]
	s_delay_alu instid0(VALU_DEP_4) | instskip(NEXT) | instid1(VALU_DEP_3)
	v_fma_f64 v[4:5], v[179:180], s[16:17], v[26:27]
	v_add_f64 v[0:1], v[104:105], v[0:1]
	s_delay_alu instid0(VALU_DEP_1) | instskip(SKIP_1) | instid1(VALU_DEP_1)
	v_add_f64 v[0:1], v[2:3], v[0:1]
	v_fma_f64 v[2:3], v[253:254], s[10:11], v[239:240]
	v_add_f64 v[2:3], v[106:107], v[2:3]
	s_delay_alu instid0(VALU_DEP_1) | instskip(SKIP_1) | instid1(VALU_DEP_1)
	v_add_f64 v[2:3], v[4:5], v[2:3]
	v_fma_f64 v[4:5], v[169:170], s[18:19], -v[28:29]
	v_add_f64 v[0:1], v[4:5], v[0:1]
	v_fma_f64 v[4:5], v[191:192], s[46:47], v[64:65]
	s_delay_alu instid0(VALU_DEP_1) | instskip(SKIP_1) | instid1(VALU_DEP_1)
	v_add_f64 v[2:3], v[4:5], v[2:3]
	v_fma_f64 v[4:5], v[175:176], s[20:21], -v[30:31]
	v_add_f64 v[0:1], v[4:5], v[0:1]
	v_fma_f64 v[4:5], v[205:206], s[28:29], v[66:67]
	;; [unrolled: 5-line block ×6, first 2 shown]
	v_fma_f64 v[4:5], v[179:180], s[22:23], v[98:99]
	s_delay_alu instid0(VALU_DEP_2) | instskip(SKIP_4) | instid1(VALU_DEP_1)
	v_add_f64 v[16:17], v[0:1], v[2:3]
	v_fma_f64 v[0:1], v[227:228], s[30:31], -v[233:234]
	v_fma_f64 v[2:3], v[164:165], s[18:19], -v[76:77]
	scratch_store_b128 off, v[14:17], off offset:44 ; 16-byte Folded Spill
	v_add_f64 v[0:1], v[104:105], v[0:1]
	v_add_f64 v[0:1], v[2:3], v[0:1]
	v_fma_f64 v[2:3], v[253:254], s[42:43], v[235:236]
	s_delay_alu instid0(VALU_DEP_1) | instskip(NEXT) | instid1(VALU_DEP_1)
	v_add_f64 v[2:3], v[106:107], v[2:3]
	v_add_f64 v[2:3], v[4:5], v[2:3]
	v_fma_f64 v[4:5], v[169:170], s[20:21], -v[82:83]
	s_delay_alu instid0(VALU_DEP_1) | instskip(SKIP_1) | instid1(VALU_DEP_1)
	v_add_f64 v[0:1], v[4:5], v[0:1]
	v_fma_f64 v[4:5], v[191:192], s[28:29], v[247:248]
	v_add_f64 v[2:3], v[4:5], v[2:3]
	v_fma_f64 v[4:5], v[175:176], s[26:27], -v[100:101]
	s_delay_alu instid0(VALU_DEP_1) | instskip(SKIP_1) | instid1(VALU_DEP_1)
	v_add_f64 v[0:1], v[4:5], v[0:1]
	v_fma_f64 v[4:5], v[205:206], s[40:41], v[225:226]
	;; [unrolled: 5-line block ×6, first 2 shown]
	v_add_f64 v[16:17], v[0:1], v[2:3]
	scratch_store_b128 off, v[14:17], off offset:60 ; 16-byte Folded Spill
	s_waitcnt_vscnt null, 0x0
	s_barrier
	buffer_gl0_inv
	s_and_saveexec_b32 s1, vcc_lo
	s_cbranch_execz .LBB0_17
; %bb.16:
	v_add_f64 v[0:1], v[106:107], v[134:135]
	v_add_f64 v[2:3], v[104:105], v[132:133]
	s_mov_b32 s55, 0xbfeec746
	s_mov_b32 s54, s28
	;; [unrolled: 1-line block ×4, first 2 shown]
	v_mul_f64 v[44:45], v[229:230], s[22:23]
	v_mul_f64 v[46:47], v[229:230], s[44:45]
	;; [unrolled: 1-line block ×10, first 2 shown]
	s_mov_b32 s53, 0x3feca52d
	s_mov_b32 s52, s10
	;; [unrolled: 1-line block ×4, first 2 shown]
	v_mul_f64 v[229:230], v[207:208], s[16:17]
	v_add_f64 v[0:1], v[0:1], v[142:143]
	v_add_f64 v[2:3], v[2:3], v[140:141]
	v_mul_f64 v[140:141], v[209:210], s[50:51]
	v_mul_f64 v[142:143], v[201:202], s[50:51]
	v_fma_f64 v[34:35], v[245:246], s[34:35], v[14:15]
	v_fma_f64 v[14:15], v[245:246], s[34:35], -v[14:15]
	v_fma_f64 v[36:37], v[245:246], s[8:9], v[16:17]
	v_fma_f64 v[16:17], v[245:246], s[8:9], -v[16:17]
	;; [unrolled: 2-line block ×4, first 2 shown]
	v_add_f64 v[0:1], v[0:1], v[138:139]
	v_add_f64 v[2:3], v[2:3], v[136:137]
	v_mul_f64 v[136:137], v[219:220], s[50:51]
	v_mul_f64 v[138:139], v[215:216], s[50:51]
	v_add_f64 v[34:35], v[106:107], v[34:35]
	v_add_f64 v[14:15], v[106:107], v[14:15]
	;; [unrolled: 1-line block ×10, first 2 shown]
	v_mul_f64 v[150:151], v[207:208], s[56:57]
	s_delay_alu instid0(VALU_DEP_3) | instskip(NEXT) | instid1(VALU_DEP_3)
	v_add_f64 v[0:1], v[0:1], v[158:159]
	v_add_f64 v[2:3], v[2:3], v[156:157]
	v_mul_f64 v[156:157], v[205:206], s[42:43]
	v_mul_f64 v[158:159], v[187:188], s[42:43]
	s_delay_alu instid0(VALU_DEP_4) | instskip(NEXT) | instid1(VALU_DEP_4)
	v_add_f64 v[0:1], v[0:1], v[154:155]
	v_add_f64 v[2:3], v[2:3], v[152:153]
	v_mul_f64 v[154:155], v[177:178], s[10:11]
	s_delay_alu instid0(VALU_DEP_3) | instskip(NEXT) | instid1(VALU_DEP_3)
	v_add_f64 v[0:1], v[0:1], v[162:163]
	v_add_f64 v[2:3], v[2:3], v[160:161]
	v_mul_f64 v[160:161], v[209:210], s[54:55]
	v_mul_f64 v[162:163], v[201:202], s[54:55]
	s_delay_alu instid0(VALU_DEP_4) | instskip(NEXT) | instid1(VALU_DEP_4)
	v_add_f64 v[0:1], v[0:1], v[146:147]
	v_add_f64 v[2:3], v[2:3], v[144:145]
	v_mul_f64 v[146:147], v[213:214], s[56:57]
	s_delay_alu instid0(VALU_DEP_3) | instskip(NEXT) | instid1(VALU_DEP_3)
	v_add_f64 v[0:1], v[0:1], v[130:131]
	v_add_f64 v[2:3], v[2:3], v[128:129]
	s_delay_alu instid0(VALU_DEP_2) | instskip(NEXT) | instid1(VALU_DEP_2)
	v_add_f64 v[0:1], v[0:1], v[126:127]
	v_add_f64 v[2:3], v[2:3], v[124:125]
	s_delay_alu instid0(VALU_DEP_2) | instskip(NEXT) | instid1(VALU_DEP_2)
	;; [unrolled: 3-line block ×3, first 2 shown]
	v_add_f64 v[0:1], v[0:1], v[118:119]
	v_add_f64 v[2:3], v[2:3], v[116:117]
	v_fma_f64 v[116:117], v[227:228], s[20:21], -v[52:53]
	v_fma_f64 v[52:53], v[227:228], s[20:21], v[52:53]
	v_fma_f64 v[118:119], v[227:228], s[24:25], -v[54:55]
	v_fma_f64 v[54:55], v[227:228], s[24:25], v[54:55]
	v_add_f64 v[0:1], v[0:1], v[114:115]
	v_add_f64 v[2:3], v[2:3], v[112:113]
	v_fma_f64 v[112:113], v[227:228], s[8:9], -v[48:49]
	v_fma_f64 v[48:49], v[227:228], s[8:9], v[48:49]
	v_fma_f64 v[114:115], v[227:228], s[26:27], -v[50:51]
	v_fma_f64 v[50:51], v[227:228], s[26:27], v[50:51]
	v_add_f64 v[144:145], v[104:105], v[116:117]
	v_add_f64 v[52:53], v[104:105], v[52:53]
	;; [unrolled: 1-line block ×6, first 2 shown]
	v_fma_f64 v[108:109], v[227:228], s[18:19], -v[44:45]
	v_fma_f64 v[44:45], v[227:228], s[18:19], v[44:45]
	v_fma_f64 v[110:111], v[227:228], s[34:35], -v[46:47]
	v_fma_f64 v[46:47], v[227:228], s[34:35], v[46:47]
	v_add_f64 v[132:133], v[104:105], v[112:113]
	v_add_f64 v[48:49], v[104:105], v[48:49]
	;; [unrolled: 1-line block ×6, first 2 shown]
	v_mul_f64 v[10:11], v[227:228], s[2:3]
	v_mul_f64 v[12:13], v[253:254], s[22:23]
	v_add_f64 v[108:109], v[104:105], v[108:109]
	v_add_f64 v[44:45], v[104:105], v[44:45]
	v_add_f64 v[128:129], v[104:105], v[110:111]
	v_add_f64 v[46:47], v[104:105], v[46:47]
	v_add_f64 v[2:3], v[0:1], v[8:9]
	v_add_f64 v[0:1], v[4:5], v[6:7]
	v_mul_f64 v[6:7], v[227:228], s[30:31]
	v_mul_f64 v[4:5], v[253:254], s[42:43]
	v_add_f64 v[10:11], v[10:11], v[18:19]
	v_fma_f64 v[32:33], v[245:246], s[18:19], v[12:13]
	v_mul_f64 v[8:9], v[253:254], s[10:11]
	v_mul_f64 v[18:19], v[253:254], s[38:39]
	v_fma_f64 v[12:13], v[245:246], s[18:19], -v[12:13]
	v_mul_f64 v[227:228], v[213:214], s[16:17]
	v_mul_f64 v[253:254], v[217:218], s[36:37]
	v_add_f64 v[6:7], v[6:7], v[233:234]
	v_add_f64 v[4:5], v[235:236], -v[4:5]
	v_add_f64 v[10:11], v[104:105], v[10:11]
	v_add_f64 v[32:33], v[106:107], v[32:33]
	v_add_f64 v[8:9], v[239:240], -v[8:9]
	v_fma_f64 v[38:39], v[245:246], s[26:27], v[18:19]
	v_fma_f64 v[18:19], v[245:246], s[26:27], -v[18:19]
	v_add_f64 v[12:13], v[106:107], v[12:13]
	v_mul_f64 v[233:234], v[217:218], s[44:45]
	v_mul_f64 v[235:236], v[211:212], s[44:45]
	;; [unrolled: 1-line block ×4, first 2 shown]
	v_add_f64 v[122:123], v[104:105], v[6:7]
	v_mul_f64 v[104:105], v[179:180], s[40:41]
	v_add_f64 v[120:121], v[106:107], v[4:5]
	v_add_f64 v[8:9], v[106:107], v[8:9]
	;; [unrolled: 1-line block ×4, first 2 shown]
	v_mul_f64 v[106:107], v[191:192], s[44:45]
	v_fma_f64 v[4:5], v[166:167], s[26:27], v[104:105]
	v_fma_f64 v[104:105], v[166:167], s[26:27], -v[104:105]
	s_delay_alu instid0(VALU_DEP_2) | instskip(SKIP_1) | instid1(VALU_DEP_3)
	v_add_f64 v[4:5], v[4:5], v[32:33]
	v_mul_f64 v[32:33], v[171:172], s[40:41]
	v_add_f64 v[12:13], v[104:105], v[12:13]
	v_fma_f64 v[104:105], v[199:200], s[30:31], v[138:139]
	s_delay_alu instid0(VALU_DEP_3) | instskip(SKIP_1) | instid1(VALU_DEP_2)
	v_fma_f64 v[6:7], v[164:165], s[26:27], -v[32:33]
	v_fma_f64 v[32:33], v[164:165], s[26:27], v[32:33]
	v_add_f64 v[6:7], v[6:7], v[108:109]
	v_fma_f64 v[108:109], v[173:174], s[34:35], v[106:107]
	s_delay_alu instid0(VALU_DEP_3) | instskip(SKIP_1) | instid1(VALU_DEP_3)
	v_add_f64 v[32:33], v[32:33], v[44:45]
	v_fma_f64 v[44:45], v[173:174], s[34:35], -v[106:107]
	v_add_f64 v[4:5], v[108:109], v[4:5]
	v_mul_f64 v[108:109], v[177:178], s[44:45]
	s_delay_alu instid0(VALU_DEP_3) | instskip(NEXT) | instid1(VALU_DEP_2)
	v_add_f64 v[12:13], v[44:45], v[12:13]
	v_fma_f64 v[110:111], v[169:170], s[34:35], -v[108:109]
	v_fma_f64 v[44:45], v[169:170], s[34:35], v[108:109]
	s_delay_alu instid0(VALU_DEP_2) | instskip(SKIP_1) | instid1(VALU_DEP_3)
	v_add_f64 v[6:7], v[110:111], v[6:7]
	v_mul_f64 v[110:111], v[205:206], s[36:37]
	v_add_f64 v[32:33], v[44:45], v[32:33]
	s_delay_alu instid0(VALU_DEP_2) | instskip(SKIP_1) | instid1(VALU_DEP_2)
	v_fma_f64 v[112:113], v[181:182], s[24:25], v[110:111]
	v_fma_f64 v[44:45], v[181:182], s[24:25], -v[110:111]
	v_add_f64 v[4:5], v[112:113], v[4:5]
	v_mul_f64 v[112:113], v[187:188], s[36:37]
	s_delay_alu instid0(VALU_DEP_3) | instskip(NEXT) | instid1(VALU_DEP_2)
	v_add_f64 v[12:13], v[44:45], v[12:13]
	v_fma_f64 v[114:115], v[175:176], s[24:25], -v[112:113]
	v_fma_f64 v[44:45], v[175:176], s[24:25], v[112:113]
	v_mul_f64 v[112:113], v[179:180], s[16:17]
	s_delay_alu instid0(VALU_DEP_3) | instskip(SKIP_1) | instid1(VALU_DEP_4)
	v_add_f64 v[6:7], v[114:115], v[6:7]
	v_mul_f64 v[114:115], v[209:210], s[16:17]
	v_add_f64 v[32:33], v[44:45], v[32:33]
	s_delay_alu instid0(VALU_DEP_4) | instskip(NEXT) | instid1(VALU_DEP_3)
	v_add_f64 v[112:113], v[26:27], -v[112:113]
	v_fma_f64 v[116:117], v[185:186], s[8:9], v[114:115]
	v_fma_f64 v[44:45], v[185:186], s[8:9], -v[114:115]
	v_mul_f64 v[114:115], v[169:170], s[18:19]
	s_delay_alu instid0(VALU_DEP_4)
	v_add_f64 v[8:9], v[112:113], v[8:9]
	v_mul_f64 v[112:113], v[189:190], s[26:27]
	v_add_f64 v[4:5], v[116:117], v[4:5]
	v_mul_f64 v[116:117], v[201:202], s[16:17]
	v_add_f64 v[12:13], v[44:45], v[12:13]
	v_add_f64 v[114:115], v[114:115], v[28:29]
	;; [unrolled: 1-line block ×3, first 2 shown]
	s_delay_alu instid0(VALU_DEP_4) | instskip(SKIP_2) | instid1(VALU_DEP_3)
	v_fma_f64 v[118:119], v[183:184], s[8:9], -v[116:117]
	v_fma_f64 v[44:45], v[183:184], s[8:9], v[116:117]
	v_mul_f64 v[116:117], v[164:165], s[8:9]
	v_add_f64 v[6:7], v[118:119], v[6:7]
	v_mul_f64 v[118:119], v[213:214], s[52:53]
	s_delay_alu instid0(VALU_DEP_4) | instskip(NEXT) | instid1(VALU_DEP_4)
	v_add_f64 v[32:33], v[44:45], v[32:33]
	v_add_f64 v[116:117], v[116:117], v[24:25]
	v_mul_f64 v[24:25], v[211:212], s[36:37]
	s_delay_alu instid0(VALU_DEP_4)
	v_fma_f64 v[124:125], v[193:194], s[2:3], v[118:119]
	v_fma_f64 v[44:45], v[193:194], s[2:3], -v[118:119]
	v_mul_f64 v[118:119], v[205:206], s[28:29]
	v_add_f64 v[10:11], v[116:117], v[10:11]
	v_mul_f64 v[116:117], v[219:220], s[44:45]
	v_fma_f64 v[26:27], v[195:196], s[24:25], v[24:25]
	v_fma_f64 v[24:25], v[195:196], s[24:25], -v[24:25]
	v_add_f64 v[4:5], v[124:125], v[4:5]
	v_mul_f64 v[124:125], v[207:208], s[52:53]
	v_add_f64 v[12:13], v[44:45], v[12:13]
	v_add_f64 v[118:119], v[66:67], -v[118:119]
	v_add_f64 v[10:11], v[114:115], v[10:11]
	v_mul_f64 v[114:115], v[195:196], s[30:31]
	v_add_f64 v[116:117], v[102:103], -v[116:117]
	v_fma_f64 v[126:127], v[189:190], s[2:3], -v[124:125]
	v_fma_f64 v[44:45], v[189:190], s[2:3], v[124:125]
	v_mul_f64 v[124:125], v[175:176], s[20:21]
	v_add_f64 v[114:115], v[114:115], v[74:75]
	s_delay_alu instid0(VALU_DEP_4) | instskip(SKIP_3) | instid1(VALU_DEP_3)
	v_add_f64 v[6:7], v[126:127], v[6:7]
	v_mul_f64 v[126:127], v[217:218], s[54:55]
	v_add_f64 v[32:33], v[44:45], v[32:33]
	v_add_f64 v[124:125], v[124:125], v[30:31]
	v_fma_f64 v[130:131], v[197:198], s[20:21], v[126:127]
	v_fma_f64 v[44:45], v[197:198], s[20:21], -v[126:127]
	v_mul_f64 v[126:127], v[209:210], s[36:37]
	s_delay_alu instid0(VALU_DEP_4)
	v_add_f64 v[10:11], v[124:125], v[10:11]
	v_mul_f64 v[124:125], v[169:170], s[20:21]
	v_add_f64 v[4:5], v[130:131], v[4:5]
	v_mul_f64 v[130:131], v[211:212], s[54:55]
	v_add_f64 v[12:13], v[44:45], v[12:13]
	v_add_f64 v[126:127], v[70:71], -v[126:127]
	v_add_f64 v[124:125], v[124:125], v[82:83]
	s_delay_alu instid0(VALU_DEP_4) | instskip(SKIP_2) | instid1(VALU_DEP_3)
	v_fma_f64 v[44:45], v[195:196], s[20:21], v[130:131]
	v_fma_f64 v[134:135], v[195:196], s[20:21], -v[130:131]
	v_mul_f64 v[130:131], v[183:184], s[24:25]
	v_add_f64 v[32:33], v[44:45], v[32:33]
	v_fma_f64 v[44:45], v[203:204], s[30:31], -v[136:137]
	s_delay_alu instid0(VALU_DEP_4)
	v_add_f64 v[134:135], v[134:135], v[6:7]
	v_fma_f64 v[6:7], v[203:204], s[30:31], v[136:137]
	v_add_f64 v[130:131], v[130:131], v[68:69]
	v_mul_f64 v[136:137], v[205:206], s[44:45]
	v_add_f64 v[104:105], v[104:105], v[32:33]
	v_add_f64 v[106:107], v[44:45], v[12:13]
	v_mul_f64 v[12:13], v[179:180], s[56:57]
	v_add_f64 v[6:7], v[6:7], v[4:5]
	v_fma_f64 v[4:5], v[199:200], s[30:31], -v[138:139]
	v_add_f64 v[10:11], v[130:131], v[10:11]
	v_mul_f64 v[130:131], v[175:176], s[26:27]
	v_mul_f64 v[138:139], v[187:188], s[44:45]
	v_fma_f64 v[32:33], v[166:167], s[24:25], -v[12:13]
	v_add_f64 v[4:5], v[4:5], v[134:135]
	v_mul_f64 v[134:135], v[213:214], s[38:39]
	v_add_f64 v[10:11], v[112:113], v[10:11]
	v_mul_f64 v[112:113], v[199:200], s[34:35]
	v_add_f64 v[130:131], v[130:131], v[100:101]
	v_add_f64 v[18:19], v[32:33], v[18:19]
	v_mul_f64 v[32:33], v[171:172], s[56:57]
	v_add_f64 v[134:135], v[78:79], -v[134:135]
	v_add_f64 v[10:11], v[114:115], v[10:11]
	v_add_f64 v[112:113], v[112:113], v[80:81]
	s_delay_alu instid0(VALU_DEP_4) | instskip(NEXT) | instid1(VALU_DEP_2)
	v_fma_f64 v[44:45], v[164:165], s[24:25], v[32:33]
	v_add_f64 v[112:113], v[112:113], v[10:11]
	v_mul_f64 v[10:11], v[205:206], s[40:41]
	s_delay_alu instid0(VALU_DEP_3) | instskip(SKIP_1) | instid1(VALU_DEP_3)
	v_add_f64 v[44:45], v[44:45], v[50:51]
	v_mul_f64 v[50:51], v[191:192], s[10:11]
	v_add_f64 v[10:11], v[225:226], -v[10:11]
	v_mul_f64 v[225:226], v[219:220], s[52:53]
	s_delay_alu instid0(VALU_DEP_3) | instskip(NEXT) | instid1(VALU_DEP_1)
	v_fma_f64 v[108:109], v[173:174], s[2:3], -v[50:51]
	v_add_f64 v[18:19], v[108:109], v[18:19]
	v_fma_f64 v[108:109], v[169:170], s[2:3], v[154:155]
	s_delay_alu instid0(VALU_DEP_1) | instskip(SKIP_1) | instid1(VALU_DEP_1)
	v_add_f64 v[44:45], v[108:109], v[44:45]
	v_fma_f64 v[108:109], v[181:182], s[30:31], -v[156:157]
	v_add_f64 v[18:19], v[108:109], v[18:19]
	v_fma_f64 v[108:109], v[175:176], s[30:31], v[158:159]
	s_delay_alu instid0(VALU_DEP_1) | instskip(SKIP_1) | instid1(VALU_DEP_1)
	v_add_f64 v[44:45], v[108:109], v[44:45]
	;; [unrolled: 5-line block ×5, first 2 shown]
	v_fma_f64 v[108:109], v[203:204], s[18:19], -v[239:240]
	v_add_f64 v[110:111], v[108:109], v[18:19]
	v_mul_f64 v[18:19], v[215:216], s[22:23]
	s_delay_alu instid0(VALU_DEP_1) | instskip(NEXT) | instid1(VALU_DEP_1)
	v_fma_f64 v[108:109], v[199:200], s[18:19], v[18:19]
	v_add_f64 v[108:109], v[108:109], v[44:45]
	v_mul_f64 v[44:45], v[191:192], s[46:47]
	s_delay_alu instid0(VALU_DEP_1) | instskip(NEXT) | instid1(VALU_DEP_1)
	v_add_f64 v[44:45], v[64:65], -v[44:45]
	v_add_f64 v[8:9], v[44:45], v[8:9]
	v_mul_f64 v[44:45], v[217:218], s[42:43]
	s_delay_alu instid0(VALU_DEP_2) | instskip(NEXT) | instid1(VALU_DEP_2)
	v_add_f64 v[8:9], v[118:119], v[8:9]
	v_add_f64 v[44:45], v[96:97], -v[44:45]
	v_mul_f64 v[118:119], v[183:184], s[2:3]
	s_delay_alu instid0(VALU_DEP_3) | instskip(SKIP_1) | instid1(VALU_DEP_3)
	v_add_f64 v[8:9], v[126:127], v[8:9]
	v_mul_f64 v[126:127], v[164:165], s[18:19]
	v_add_f64 v[118:119], v[118:119], v[251:252]
	v_mul_f64 v[251:252], v[207:208], s[22:23]
	s_delay_alu instid0(VALU_DEP_4) | instskip(NEXT) | instid1(VALU_DEP_4)
	v_add_f64 v[8:9], v[134:135], v[8:9]
	v_add_f64 v[126:127], v[126:127], v[76:77]
	v_mul_f64 v[134:135], v[213:214], s[44:45]
	s_mov_b32 s45, 0x3fe0d888
	s_delay_alu instid0(VALU_DEP_3) | instskip(SKIP_1) | instid1(VALU_DEP_3)
	v_add_f64 v[8:9], v[44:45], v[8:9]
	v_mul_f64 v[44:45], v[191:192], s[28:29]
	v_add_f64 v[134:135], v[221:222], -v[134:135]
	v_mul_f64 v[221:222], v[217:218], s[22:23]
	s_delay_alu instid0(VALU_DEP_4) | instskip(SKIP_4) | instid1(VALU_DEP_4)
	v_add_f64 v[114:115], v[116:117], v[8:9]
	v_mul_f64 v[116:117], v[179:180], s[22:23]
	v_add_f64 v[44:45], v[247:248], -v[44:45]
	v_mul_f64 v[8:9], v[209:210], s[10:11]
	v_mul_f64 v[247:248], v[201:202], s[38:39]
	v_add_f64 v[116:117], v[98:99], -v[116:117]
	s_delay_alu instid0(VALU_DEP_3) | instskip(SKIP_1) | instid1(VALU_DEP_3)
	v_add_f64 v[8:9], v[231:232], -v[8:9]
	v_mul_f64 v[231:232], v[191:192], s[42:43]
	v_add_f64 v[116:117], v[116:117], v[120:121]
	v_add_f64 v[120:121], v[126:127], v[122:123]
	v_mul_f64 v[122:123], v[189:190], s[34:35]
	s_delay_alu instid0(VALU_DEP_3) | instskip(NEXT) | instid1(VALU_DEP_3)
	v_add_f64 v[44:45], v[44:45], v[116:117]
	v_add_f64 v[116:117], v[124:125], v[120:121]
	v_mul_f64 v[120:121], v[217:218], s[48:49]
	s_delay_alu instid0(VALU_DEP_4)
	v_add_f64 v[122:123], v[122:123], v[241:242]
	v_mul_f64 v[241:242], v[205:206], s[48:49]
	v_add_f64 v[10:11], v[10:11], v[44:45]
	v_add_f64 v[44:45], v[130:131], v[116:117]
	v_add_f64 v[120:121], v[223:224], -v[120:121]
	v_mul_f64 v[116:117], v[195:196], s[8:9]
	v_mul_f64 v[223:224], v[211:212], s[22:23]
	;; [unrolled: 1-line block ×3, first 2 shown]
	v_add_f64 v[8:9], v[8:9], v[10:11]
	v_add_f64 v[10:11], v[118:119], v[44:45]
	v_mul_f64 v[44:45], v[219:220], s[36:37]
	v_add_f64 v[116:117], v[116:117], v[243:244]
	v_mul_f64 v[118:119], v[199:200], s[24:25]
	v_mul_f64 v[243:244], v[187:188], s[48:49]
	v_add_f64 v[8:9], v[134:135], v[8:9]
	v_add_f64 v[10:11], v[122:123], v[10:11]
	v_add_f64 v[44:45], v[249:250], -v[44:45]
	v_mul_f64 v[134:135], v[177:178], s[38:39]
	v_add_f64 v[122:123], v[118:119], v[237:238]
	v_mul_f64 v[237:238], v[177:178], s[42:43]
	v_mul_f64 v[249:250], v[213:214], s[22:23]
	v_add_f64 v[8:9], v[120:121], v[8:9]
	v_add_f64 v[10:11], v[116:117], v[10:11]
	s_delay_alu instid0(VALU_DEP_2) | instskip(SKIP_1) | instid1(VALU_DEP_3)
	v_add_f64 v[118:119], v[44:45], v[8:9]
	v_mul_f64 v[8:9], v[179:180], s[28:29]
	v_add_f64 v[116:117], v[122:123], v[10:11]
	s_delay_alu instid0(VALU_DEP_2) | instskip(SKIP_1) | instid1(VALU_DEP_2)
	v_fma_f64 v[10:11], v[166:167], s[20:21], -v[8:9]
	v_fma_f64 v[8:9], v[166:167], s[20:21], v[8:9]
	v_add_f64 v[10:11], v[10:11], v[16:17]
	v_mul_f64 v[16:17], v[171:172], s[28:29]
	s_delay_alu instid0(VALU_DEP_3) | instskip(NEXT) | instid1(VALU_DEP_2)
	v_add_f64 v[8:9], v[8:9], v[36:37]
	v_fma_f64 v[44:45], v[164:165], s[20:21], v[16:17]
	s_delay_alu instid0(VALU_DEP_1) | instskip(SKIP_1) | instid1(VALU_DEP_1)
	v_add_f64 v[44:45], v[44:45], v[48:49]
	v_mul_f64 v[48:49], v[191:192], s[38:39]
	v_fma_f64 v[120:121], v[173:174], s[26:27], -v[48:49]
	s_delay_alu instid0(VALU_DEP_1) | instskip(SKIP_1) | instid1(VALU_DEP_1)
	v_add_f64 v[10:11], v[120:121], v[10:11]
	v_fma_f64 v[120:121], v[169:170], s[26:27], v[134:135]
	v_add_f64 v[44:45], v[120:121], v[44:45]
	v_fma_f64 v[120:121], v[181:182], s[34:35], -v[136:137]
	s_delay_alu instid0(VALU_DEP_1) | instskip(SKIP_1) | instid1(VALU_DEP_1)
	v_add_f64 v[10:11], v[120:121], v[10:11]
	v_fma_f64 v[120:121], v[175:176], s[34:35], v[138:139]
	v_add_f64 v[44:45], v[120:121], v[44:45]
	;; [unrolled: 5-line block ×5, first 2 shown]
	v_fma_f64 v[120:121], v[203:204], s[2:3], -v[225:226]
	s_delay_alu instid0(VALU_DEP_1) | instskip(SKIP_1) | instid1(VALU_DEP_1)
	v_add_f64 v[122:123], v[120:121], v[10:11]
	v_mul_f64 v[10:11], v[215:216], s[52:53]
	v_fma_f64 v[120:121], v[199:200], s[2:3], v[10:11]
	v_fma_f64 v[10:11], v[199:200], s[2:3], -v[10:11]
	s_delay_alu instid0(VALU_DEP_2) | instskip(SKIP_1) | instid1(VALU_DEP_1)
	v_add_f64 v[120:121], v[120:121], v[44:45]
	v_mul_f64 v[44:45], v[179:180], s[52:53]
	v_fma_f64 v[124:125], v[166:167], s[2:3], -v[44:45]
	s_delay_alu instid0(VALU_DEP_1) | instskip(SKIP_1) | instid1(VALU_DEP_1)
	v_add_f64 v[14:15], v[124:125], v[14:15]
	v_fma_f64 v[124:125], v[164:165], s[2:3], v[130:131]
	v_add_f64 v[46:47], v[124:125], v[46:47]
	v_fma_f64 v[124:125], v[173:174], s[30:31], -v[231:232]
	s_delay_alu instid0(VALU_DEP_1) | instskip(SKIP_1) | instid1(VALU_DEP_1)
	v_add_f64 v[14:15], v[124:125], v[14:15]
	v_fma_f64 v[124:125], v[169:170], s[30:31], v[237:238]
	v_add_f64 v[46:47], v[124:125], v[46:47]
	v_fma_f64 v[124:125], v[181:182], s[8:9], -v[241:242]
	s_delay_alu instid0(VALU_DEP_1) | instskip(SKIP_1) | instid1(VALU_DEP_1)
	v_add_f64 v[14:15], v[124:125], v[14:15]
	v_fma_f64 v[124:125], v[175:176], s[8:9], v[243:244]
	v_add_f64 v[46:47], v[124:125], v[46:47]
	v_fma_f64 v[124:125], v[185:186], s[26:27], -v[245:246]
	s_delay_alu instid0(VALU_DEP_1) | instskip(SKIP_1) | instid1(VALU_DEP_1)
	v_add_f64 v[14:15], v[124:125], v[14:15]
	v_fma_f64 v[124:125], v[183:184], s[26:27], v[247:248]
	v_add_f64 v[46:47], v[124:125], v[46:47]
	v_fma_f64 v[124:125], v[193:194], s[18:19], -v[249:250]
	s_delay_alu instid0(VALU_DEP_1) | instskip(SKIP_1) | instid1(VALU_DEP_1)
	v_add_f64 v[14:15], v[124:125], v[14:15]
	v_fma_f64 v[124:125], v[189:190], s[18:19], v[251:252]
	v_add_f64 v[46:47], v[124:125], v[46:47]
	v_fma_f64 v[124:125], v[197:198], s[24:25], -v[253:254]
	s_delay_alu instid0(VALU_DEP_2) | instskip(SKIP_1) | instid1(VALU_DEP_3)
	v_add_f64 v[26:27], v[26:27], v[46:47]
	v_mul_f64 v[46:47], v[219:220], s[54:55]
	v_add_f64 v[14:15], v[124:125], v[14:15]
	s_delay_alu instid0(VALU_DEP_2) | instskip(NEXT) | instid1(VALU_DEP_1)
	v_fma_f64 v[124:125], v[203:204], s[20:21], -v[46:47]
	v_add_f64 v[126:127], v[124:125], v[14:15]
	v_mul_f64 v[14:15], v[215:216], s[54:55]
	s_delay_alu instid0(VALU_DEP_1) | instskip(SKIP_1) | instid1(VALU_DEP_2)
	v_fma_f64 v[124:125], v[199:200], s[20:21], v[14:15]
	v_fma_f64 v[14:15], v[199:200], s[20:21], -v[14:15]
	v_add_f64 v[124:125], v[124:125], v[26:27]
	v_fma_f64 v[26:27], v[166:167], s[2:3], v[44:45]
	v_fma_f64 v[44:45], v[173:174], s[30:31], v[231:232]
	s_delay_alu instid0(VALU_DEP_2) | instskip(SKIP_1) | instid1(VALU_DEP_2)
	v_add_f64 v[26:27], v[26:27], v[34:35]
	v_fma_f64 v[34:35], v[164:165], s[2:3], -v[130:131]
	v_add_f64 v[26:27], v[44:45], v[26:27]
	s_delay_alu instid0(VALU_DEP_2) | instskip(SKIP_1) | instid1(VALU_DEP_1)
	v_add_f64 v[34:35], v[34:35], v[128:129]
	v_fma_f64 v[44:45], v[169:170], s[30:31], -v[237:238]
	v_add_f64 v[34:35], v[44:45], v[34:35]
	v_fma_f64 v[44:45], v[181:182], s[8:9], v[241:242]
	s_delay_alu instid0(VALU_DEP_1) | instskip(SKIP_1) | instid1(VALU_DEP_1)
	v_add_f64 v[26:27], v[44:45], v[26:27]
	v_fma_f64 v[44:45], v[175:176], s[8:9], -v[243:244]
	v_add_f64 v[34:35], v[44:45], v[34:35]
	v_fma_f64 v[44:45], v[185:186], s[26:27], v[245:246]
	s_delay_alu instid0(VALU_DEP_1) | instskip(SKIP_1) | instid1(VALU_DEP_1)
	;; [unrolled: 5-line block ×3, first 2 shown]
	v_add_f64 v[26:27], v[44:45], v[26:27]
	v_fma_f64 v[44:45], v[189:190], s[18:19], -v[251:252]
	v_add_f64 v[34:35], v[44:45], v[34:35]
	v_fma_f64 v[44:45], v[197:198], s[24:25], v[253:254]
	s_delay_alu instid0(VALU_DEP_2) | instskip(NEXT) | instid1(VALU_DEP_2)
	v_add_f64 v[24:25], v[24:25], v[34:35]
	v_add_f64 v[26:27], v[44:45], v[26:27]
	v_fma_f64 v[34:35], v[203:204], s[20:21], v[46:47]
	s_delay_alu instid0(VALU_DEP_3) | instskip(SKIP_2) | instid1(VALU_DEP_4)
	v_add_f64 v[128:129], v[14:15], v[24:25]
	v_fma_f64 v[14:15], v[164:165], s[20:21], -v[16:17]
	v_fma_f64 v[16:17], v[173:174], s[26:27], v[48:49]
	v_add_f64 v[130:131], v[34:35], v[26:27]
	s_delay_alu instid0(VALU_DEP_3) | instskip(NEXT) | instid1(VALU_DEP_3)
	v_add_f64 v[14:15], v[14:15], v[132:133]
	v_add_f64 v[8:9], v[16:17], v[8:9]
	v_fma_f64 v[16:17], v[169:170], s[26:27], -v[134:135]
	s_delay_alu instid0(VALU_DEP_1) | instskip(SKIP_1) | instid1(VALU_DEP_1)
	v_add_f64 v[14:15], v[16:17], v[14:15]
	v_fma_f64 v[16:17], v[181:182], s[34:35], v[136:137]
	v_add_f64 v[8:9], v[16:17], v[8:9]
	v_fma_f64 v[16:17], v[175:176], s[34:35], -v[138:139]
	s_delay_alu instid0(VALU_DEP_1) | instskip(SKIP_1) | instid1(VALU_DEP_1)
	v_add_f64 v[14:15], v[16:17], v[14:15]
	v_fma_f64 v[16:17], v[185:186], s[30:31], v[140:141]
	v_add_f64 v[8:9], v[16:17], v[8:9]
	v_fma_f64 v[16:17], v[183:184], s[30:31], -v[142:143]
	s_delay_alu instid0(VALU_DEP_1) | instskip(SKIP_2) | instid1(VALU_DEP_2)
	v_add_f64 v[14:15], v[16:17], v[14:15]
	v_fma_f64 v[16:17], v[193:194], s[24:25], v[146:147]
	v_mul_f64 v[146:147], v[171:172], s[44:45]
	v_add_f64 v[8:9], v[16:17], v[8:9]
	v_fma_f64 v[16:17], v[189:190], s[24:25], -v[150:151]
	v_mul_f64 v[150:151], v[211:212], s[52:53]
	v_mul_f64 v[211:212], v[211:212], s[38:39]
	s_delay_alu instid0(VALU_DEP_3) | instskip(SKIP_2) | instid1(VALU_DEP_2)
	v_add_f64 v[14:15], v[16:17], v[14:15]
	v_fma_f64 v[16:17], v[197:198], s[18:19], v[221:222]
	v_mul_f64 v[221:222], v[219:220], s[40:41]
	v_add_f64 v[8:9], v[16:17], v[8:9]
	v_fma_f64 v[16:17], v[195:196], s[18:19], -v[223:224]
	s_delay_alu instid0(VALU_DEP_1) | instskip(SKIP_1) | instid1(VALU_DEP_2)
	v_add_f64 v[14:15], v[16:17], v[14:15]
	v_fma_f64 v[16:17], v[203:204], s[2:3], v[225:226]
	v_add_f64 v[132:133], v[10:11], v[14:15]
	s_delay_alu instid0(VALU_DEP_2) | instskip(SKIP_3) | instid1(VALU_DEP_3)
	v_add_f64 v[134:135], v[16:17], v[8:9]
	v_mul_f64 v[8:9], v[179:180], s[42:43]
	v_mul_f64 v[14:15], v[171:172], s[42:43]
	;; [unrolled: 1-line block ×3, first 2 shown]
	v_fma_f64 v[10:11], v[166:167], s[30:31], -v[8:9]
	s_delay_alu instid0(VALU_DEP_3) | instskip(SKIP_2) | instid1(VALU_DEP_4)
	v_fma_f64 v[16:17], v[164:165], s[30:31], v[14:15]
	v_fma_f64 v[8:9], v[166:167], s[30:31], v[8:9]
	v_fma_f64 v[14:15], v[164:165], s[30:31], -v[14:15]
	v_add_f64 v[10:11], v[10:11], v[22:23]
	v_mul_f64 v[22:23], v[191:192], s[16:17]
	v_add_f64 v[16:17], v[16:17], v[54:55]
	v_mul_f64 v[191:192], v[209:210], s[22:23]
	v_add_f64 v[8:9], v[8:9], v[42:43]
	v_add_f64 v[14:15], v[14:15], v[148:149]
	v_fma_f64 v[24:25], v[173:174], s[8:9], -v[22:23]
	s_delay_alu instid0(VALU_DEP_1) | instskip(SKIP_2) | instid1(VALU_DEP_2)
	v_add_f64 v[10:11], v[24:25], v[10:11]
	v_mul_f64 v[24:25], v[177:178], s[16:17]
	v_mul_f64 v[177:178], v[177:178], s[36:37]
	v_fma_f64 v[26:27], v[169:170], s[8:9], v[24:25]
	s_delay_alu instid0(VALU_DEP_1) | instskip(SKIP_1) | instid1(VALU_DEP_1)
	v_add_f64 v[16:17], v[26:27], v[16:17]
	v_mul_f64 v[26:27], v[205:206], s[22:23]
	v_fma_f64 v[34:35], v[181:182], s[18:19], -v[26:27]
	s_delay_alu instid0(VALU_DEP_1) | instskip(SKIP_2) | instid1(VALU_DEP_2)
	v_add_f64 v[10:11], v[34:35], v[10:11]
	v_mul_f64 v[34:35], v[187:188], s[22:23]
	v_mul_f64 v[187:188], v[187:188], s[10:11]
	v_fma_f64 v[36:37], v[175:176], s[18:19], v[34:35]
	s_delay_alu instid0(VALU_DEP_1) | instskip(SKIP_2) | instid1(VALU_DEP_2)
	v_add_f64 v[16:17], v[36:37], v[16:17]
	v_mul_f64 v[36:37], v[209:210], s[44:45]
	v_mul_f64 v[209:210], v[217:218], s[38:39]
	v_fma_f64 v[44:45], v[185:186], s[34:35], -v[36:37]
	s_delay_alu instid0(VALU_DEP_1) | instskip(SKIP_2) | instid1(VALU_DEP_2)
	v_add_f64 v[10:11], v[44:45], v[10:11]
	v_mul_f64 v[44:45], v[201:202], s[44:45]
	v_mul_f64 v[201:202], v[201:202], s[22:23]
	v_fma_f64 v[46:47], v[183:184], s[34:35], v[44:45]
	s_delay_alu instid0(VALU_DEP_1) | instskip(SKIP_1) | instid1(VALU_DEP_1)
	v_add_f64 v[16:17], v[46:47], v[16:17]
	v_mul_f64 v[46:47], v[213:214], s[28:29]
	v_fma_f64 v[48:49], v[193:194], s[20:21], -v[46:47]
	s_delay_alu instid0(VALU_DEP_1) | instskip(SKIP_2) | instid1(VALU_DEP_2)
	v_add_f64 v[10:11], v[48:49], v[10:11]
	v_mul_f64 v[48:49], v[207:208], s[28:29]
	v_mul_f64 v[207:208], v[207:208], s[50:51]
	v_fma_f64 v[54:55], v[189:190], s[20:21], v[48:49]
	s_delay_alu instid0(VALU_DEP_1) | instskip(SKIP_1) | instid1(VALU_DEP_1)
	v_add_f64 v[16:17], v[54:55], v[16:17]
	v_mul_f64 v[54:55], v[217:218], s[52:53]
	v_fma_f64 v[136:137], v[197:198], s[2:3], -v[54:55]
	s_delay_alu instid0(VALU_DEP_1) | instskip(SKIP_1) | instid1(VALU_DEP_1)
	v_add_f64 v[10:11], v[136:137], v[10:11]
	v_fma_f64 v[136:137], v[195:196], s[2:3], v[150:151]
	v_add_f64 v[16:17], v[136:137], v[16:17]
	v_fma_f64 v[136:137], v[203:204], s[26:27], -v[221:222]
	s_delay_alu instid0(VALU_DEP_1) | instskip(SKIP_2) | instid1(VALU_DEP_2)
	v_add_f64 v[138:139], v[136:137], v[10:11]
	v_mul_f64 v[10:11], v[215:216], s[40:41]
	v_mul_f64 v[215:216], v[215:216], s[16:17]
	v_fma_f64 v[136:137], v[199:200], s[26:27], v[10:11]
	v_fma_f64 v[10:11], v[199:200], s[26:27], -v[10:11]
	s_delay_alu instid0(VALU_DEP_2) | instskip(SKIP_4) | instid1(VALU_DEP_4)
	v_add_f64 v[136:137], v[136:137], v[16:17]
	v_mul_f64 v[16:17], v[179:180], s[44:45]
	v_mul_f64 v[179:180], v[205:206], s[10:11]
	;; [unrolled: 1-line block ×4, first 2 shown]
	v_fma_f64 v[140:141], v[166:167], s[34:35], -v[16:17]
	v_fma_f64 v[16:17], v[166:167], s[34:35], v[16:17]
	s_delay_alu instid0(VALU_DEP_2) | instskip(SKIP_1) | instid1(VALU_DEP_3)
	v_add_f64 v[20:21], v[140:141], v[20:21]
	v_fma_f64 v[140:141], v[164:165], s[34:35], v[146:147]
	v_add_f64 v[16:17], v[16:17], v[40:41]
	v_fma_f64 v[40:41], v[173:174], s[24:25], v[171:172]
	s_delay_alu instid0(VALU_DEP_3) | instskip(SKIP_1) | instid1(VALU_DEP_3)
	v_add_f64 v[52:53], v[140:141], v[52:53]
	v_fma_f64 v[140:141], v[173:174], s[24:25], -v[171:172]
	v_add_f64 v[16:17], v[40:41], v[16:17]
	v_fma_f64 v[40:41], v[169:170], s[24:25], -v[177:178]
	s_delay_alu instid0(VALU_DEP_3) | instskip(SKIP_1) | instid1(VALU_DEP_1)
	v_add_f64 v[20:21], v[140:141], v[20:21]
	v_fma_f64 v[140:141], v[169:170], s[24:25], v[177:178]
	v_add_f64 v[52:53], v[140:141], v[52:53]
	v_fma_f64 v[140:141], v[181:182], s[2:3], -v[179:180]
	s_delay_alu instid0(VALU_DEP_1) | instskip(SKIP_1) | instid1(VALU_DEP_1)
	v_add_f64 v[20:21], v[140:141], v[20:21]
	v_fma_f64 v[140:141], v[175:176], s[2:3], v[187:188]
	v_add_f64 v[52:53], v[140:141], v[52:53]
	v_fma_f64 v[140:141], v[185:186], s[18:19], -v[191:192]
	s_delay_alu instid0(VALU_DEP_1) | instskip(SKIP_1) | instid1(VALU_DEP_1)
	v_add_f64 v[20:21], v[140:141], v[20:21]
	v_fma_f64 v[140:141], v[183:184], s[18:19], v[201:202]
	v_add_f64 v[52:53], v[140:141], v[52:53]
	v_fma_f64 v[140:141], v[193:194], s[30:31], -v[205:206]
	s_delay_alu instid0(VALU_DEP_1) | instskip(SKIP_1) | instid1(VALU_DEP_1)
	v_add_f64 v[20:21], v[140:141], v[20:21]
	v_fma_f64 v[140:141], v[189:190], s[30:31], v[207:208]
	v_add_f64 v[52:53], v[140:141], v[52:53]
	v_fma_f64 v[140:141], v[197:198], s[26:27], -v[209:210]
	s_delay_alu instid0(VALU_DEP_1) | instskip(SKIP_1) | instid1(VALU_DEP_1)
	v_add_f64 v[20:21], v[140:141], v[20:21]
	v_fma_f64 v[140:141], v[195:196], s[26:27], v[211:212]
	v_add_f64 v[52:53], v[140:141], v[52:53]
	v_fma_f64 v[140:141], v[203:204], s[8:9], -v[213:214]
	s_delay_alu instid0(VALU_DEP_1) | instskip(SKIP_1) | instid1(VALU_DEP_1)
	v_add_f64 v[142:143], v[140:141], v[20:21]
	v_fma_f64 v[20:21], v[199:200], s[8:9], v[215:216]
	v_add_f64 v[140:141], v[20:21], v[52:53]
	v_fma_f64 v[20:21], v[164:165], s[34:35], -v[146:147]
	v_fma_f64 v[52:53], v[199:200], s[8:9], -v[215:216]
	s_delay_alu instid0(VALU_DEP_2) | instskip(NEXT) | instid1(VALU_DEP_1)
	v_add_f64 v[20:21], v[20:21], v[144:145]
	v_add_f64 v[20:21], v[40:41], v[20:21]
	v_fma_f64 v[40:41], v[181:182], s[2:3], v[179:180]
	s_delay_alu instid0(VALU_DEP_1) | instskip(SKIP_1) | instid1(VALU_DEP_1)
	v_add_f64 v[16:17], v[40:41], v[16:17]
	v_fma_f64 v[40:41], v[175:176], s[2:3], -v[187:188]
	v_add_f64 v[20:21], v[40:41], v[20:21]
	v_fma_f64 v[40:41], v[185:186], s[18:19], v[191:192]
	s_delay_alu instid0(VALU_DEP_1) | instskip(SKIP_1) | instid1(VALU_DEP_1)
	v_add_f64 v[16:17], v[40:41], v[16:17]
	v_fma_f64 v[40:41], v[183:184], s[18:19], -v[201:202]
	;; [unrolled: 5-line block ×4, first 2 shown]
	v_add_f64 v[20:21], v[40:41], v[20:21]
	v_fma_f64 v[40:41], v[203:204], s[8:9], v[213:214]
	s_delay_alu instid0(VALU_DEP_2) | instskip(NEXT) | instid1(VALU_DEP_2)
	v_add_f64 v[144:145], v[52:53], v[20:21]
	v_add_f64 v[146:147], v[40:41], v[16:17]
	v_fma_f64 v[16:17], v[173:174], s[8:9], v[22:23]
	s_delay_alu instid0(VALU_DEP_1) | instskip(SKIP_1) | instid1(VALU_DEP_1)
	v_add_f64 v[8:9], v[16:17], v[8:9]
	v_fma_f64 v[16:17], v[169:170], s[8:9], -v[24:25]
	v_add_f64 v[14:15], v[16:17], v[14:15]
	v_fma_f64 v[16:17], v[181:182], s[18:19], v[26:27]
	s_delay_alu instid0(VALU_DEP_1) | instskip(SKIP_1) | instid1(VALU_DEP_1)
	v_add_f64 v[8:9], v[16:17], v[8:9]
	v_fma_f64 v[16:17], v[175:176], s[18:19], -v[34:35]
	;; [unrolled: 5-line block ×5, first 2 shown]
	v_add_f64 v[14:15], v[16:17], v[14:15]
	v_fma_f64 v[16:17], v[203:204], s[26:27], v[221:222]
	s_delay_alu instid0(VALU_DEP_2) | instskip(NEXT) | instid1(VALU_DEP_2)
	v_add_f64 v[148:149], v[10:11], v[14:15]
	v_add_f64 v[150:151], v[16:17], v[8:9]
	v_fma_f64 v[8:9], v[166:167], s[24:25], v[12:13]
	v_fma_f64 v[10:11], v[164:165], s[24:25], -v[32:33]
	v_fma_f64 v[12:13], v[173:174], s[2:3], v[50:51]
	v_fma_f64 v[14:15], v[169:170], s[2:3], -v[154:155]
	v_fma_f64 v[16:17], v[181:182], s[30:31], v[156:157]
	v_add_f64 v[8:9], v[8:9], v[38:39]
	v_add_f64 v[10:11], v[10:11], v[152:153]
	s_delay_alu instid0(VALU_DEP_2) | instskip(SKIP_1) | instid1(VALU_DEP_3)
	v_add_f64 v[8:9], v[12:13], v[8:9]
	v_fma_f64 v[12:13], v[175:176], s[30:31], -v[158:159]
	v_add_f64 v[10:11], v[14:15], v[10:11]
	v_fma_f64 v[14:15], v[185:186], s[20:21], v[160:161]
	s_delay_alu instid0(VALU_DEP_4) | instskip(SKIP_1) | instid1(VALU_DEP_4)
	v_add_f64 v[8:9], v[16:17], v[8:9]
	v_fma_f64 v[16:17], v[183:184], s[20:21], -v[162:163]
	v_add_f64 v[10:11], v[12:13], v[10:11]
	v_fma_f64 v[12:13], v[193:194], s[8:9], v[227:228]
	s_delay_alu instid0(VALU_DEP_4) | instskip(SKIP_1) | instid1(VALU_DEP_4)
	;; [unrolled: 5-line block ×4, first 2 shown]
	v_add_f64 v[8:9], v[16:17], v[8:9]
	v_fma_f64 v[16:17], v[199:200], s[18:19], -v[18:19]
	v_add_f64 v[10:11], v[12:13], v[10:11]
	s_delay_alu instid0(VALU_DEP_3) | instskip(SKIP_4) | instid1(VALU_DEP_1)
	v_add_f64 v[154:155], v[14:15], v[8:9]
	scratch_load_b32 v8, off, off           ; 4-byte Folded Reload
	v_add_f64 v[152:153], v[16:17], v[10:11]
	s_waitcnt vmcnt(0)
	v_mul_lo_u16 v8, v8, 17
	v_and_b32_e32 v8, 0xffff, v8
	s_delay_alu instid0(VALU_DEP_1)
	v_lshlrev_b32_e32 v8, 4, v8
	ds_store_b128 v8, v[0:3]
	ds_store_b128 v8, v[108:111] offset:16
	ds_store_b128 v8, v[136:139] offset:32
	;; [unrolled: 1-line block ×12, first 2 shown]
	scratch_load_b128 v[0:3], off, off offset:60 ; 16-byte Folded Reload
	s_waitcnt vmcnt(0)
	ds_store_b128 v8, v[0:3] offset:208
	scratch_load_b128 v[0:3], off, off offset:44 ; 16-byte Folded Reload
	s_waitcnt vmcnt(0)
	ds_store_b128 v8, v[0:3] offset:224
	ds_store_b128 v8, v[148:151] offset:240
	;; [unrolled: 1-line block ×3, first 2 shown]
.LBB0_17:
	s_or_b32 exec_lo, exec_lo, s1
	s_waitcnt lgkmcnt(0)
	s_barrier
	buffer_gl0_inv
	ds_load_b128 v[0:3], v255 offset:816
	ds_load_b128 v[108:111], v255
	scratch_load_b128 v[6:9], off, off offset:76 ; 16-byte Folded Reload
	s_mov_b32 s34, 0x42a4c3d2
	s_mov_b32 s35, 0xbfea55e2
	s_mov_b32 s46, 0x4267c47c
	s_mov_b32 s16, 0x1ea71119
	s_mov_b32 s44, 0x66966769
	s_mov_b32 s24, 0x2ef20147
	s_mov_b32 s38, 0x24c2f84
	s_mov_b32 s28, 0x4bc48dbf
	s_mov_b32 s47, 0xbfddbe06
	s_mov_b32 s17, 0x3fe22d96
	s_mov_b32 s45, 0xbfefc445
	s_mov_b32 s25, 0xbfedeba7
	s_mov_b32 s39, 0xbfe5384d
	s_mov_b32 s29, 0xbfcea1e5
	s_mov_b32 s20, 0xe00740e9
	s_mov_b32 s18, 0xebaa3ed8
	s_mov_b32 s10, 0xb2365da1
	s_mov_b32 s8, 0xd0032e0c
	s_mov_b32 s2, 0x93053d00
	s_mov_b32 s21, 0x3fec55a7
	s_mov_b32 s19, 0x3fbedb7d
	s_mov_b32 s11, 0xbfd6b1d8
	s_mov_b32 s9, 0xbfe7f3cc
	s_mov_b32 s3, 0xbfef11f4
	s_mov_b32 s43, 0x3fddbe06
	s_mov_b32 s41, 0x3fea55e2
	s_mov_b32 s37, 0x3fefc445
	s_mov_b32 s31, 0x3fedeba7
	s_mov_b32 s27, 0x3fe5384d
	s_mov_b32 s23, 0x3fcea1e5
	s_mov_b32 s42, s46
	s_mov_b32 s40, s34
	s_mov_b32 s36, s44
	s_mov_b32 s30, s24
	s_mov_b32 s26, s38
	s_mov_b32 s22, s28
	s_waitcnt vmcnt(0) lgkmcnt(1)
	v_mul_f64 v[4:5], v[8:9], v[2:3]
	s_delay_alu instid0(VALU_DEP_1) | instskip(SKIP_1) | instid1(VALU_DEP_1)
	v_fma_f64 v[24:25], v[6:7], v[0:1], v[4:5]
	v_mul_f64 v[0:1], v[8:9], v[0:1]
	v_fma_f64 v[26:27], v[6:7], v[2:3], -v[0:1]
	ds_load_b128 v[0:3], v255 offset:1632
	ds_load_b128 v[112:115], v255 offset:2448
	scratch_load_b128 v[6:9], off, off offset:124 ; 16-byte Folded Reload
	s_waitcnt vmcnt(0) lgkmcnt(1)
	v_mul_f64 v[4:5], v[8:9], v[0:1]
	s_delay_alu instid0(VALU_DEP_1) | instskip(SKIP_1) | instid1(VALU_DEP_1)
	v_fma_f64 v[104:105], v[6:7], v[2:3], -v[4:5]
	v_mul_f64 v[2:3], v[8:9], v[2:3]
	v_fma_f64 v[20:21], v[6:7], v[0:1], v[2:3]
	scratch_load_b128 v[6:9], off, off offset:92 ; 16-byte Folded Reload
	ds_load_b128 v[0:3], v255 offset:9792
	s_waitcnt vmcnt(0) lgkmcnt(0)
	v_mul_f64 v[4:5], v[8:9], v[0:1]
	s_delay_alu instid0(VALU_DEP_1) | instskip(SKIP_1) | instid1(VALU_DEP_1)
	v_fma_f64 v[4:5], v[6:7], v[2:3], -v[4:5]
	v_mul_f64 v[2:3], v[8:9], v[2:3]
	v_fma_f64 v[6:7], v[6:7], v[0:1], v[2:3]
	ds_load_b128 v[0:3], v255 offset:8976
	ds_load_b128 v[116:119], v255 offset:8160
	s_clause 0x1
	scratch_load_b128 v[10:13], off, off offset:108
	scratch_load_b128 v[28:31], off, off offset:220
	v_add_f64 v[122:123], v[24:25], -v[6:7]
	s_waitcnt vmcnt(1) lgkmcnt(1)
	v_mul_f64 v[8:9], v[12:13], v[0:1]
	s_delay_alu instid0(VALU_DEP_1)
	v_fma_f64 v[8:9], v[10:11], v[2:3], -v[8:9]
	v_mul_f64 v[2:3], v[12:13], v[2:3]
	scratch_load_b128 v[12:15], off, off offset:188 ; 16-byte Folded Reload
	v_add_f64 v[160:161], v[104:105], -v[8:9]
	v_fma_f64 v[10:11], v[10:11], v[0:1], v[2:3]
	v_add_f64 v[162:163], v[104:105], v[8:9]
	s_delay_alu instid0(VALU_DEP_3) | instskip(SKIP_1) | instid1(VALU_DEP_3)
	v_mul_f64 v[207:208], v[160:161], s[24:25]
	v_mul_f64 v[225:226], v[160:161], s[28:29]
	;; [unrolled: 1-line block ×7, first 2 shown]
	s_waitcnt vmcnt(0)
	v_mul_f64 v[0:1], v[14:15], v[114:115]
	s_delay_alu instid0(VALU_DEP_1) | instskip(SKIP_1) | instid1(VALU_DEP_1)
	v_fma_f64 v[16:17], v[12:13], v[112:113], v[0:1]
	v_mul_f64 v[0:1], v[14:15], v[112:113]
	v_fma_f64 v[18:19], v[12:13], v[114:115], -v[0:1]
	s_waitcnt lgkmcnt(0)
	v_mul_f64 v[0:1], v[30:31], v[118:119]
	s_delay_alu instid0(VALU_DEP_1) | instskip(SKIP_1) | instid1(VALU_DEP_2)
	v_fma_f64 v[12:13], v[28:29], v[116:117], v[0:1]
	v_mul_f64 v[0:1], v[30:31], v[116:117]
	v_add_f64 v[166:167], v[16:17], -v[12:13]
	s_delay_alu instid0(VALU_DEP_2) | instskip(SKIP_4) | instid1(VALU_DEP_1)
	v_fma_f64 v[14:15], v[28:29], v[118:119], -v[0:1]
	ds_load_b128 v[0:3], v255 offset:3264
	ds_load_b128 v[52:55], v255 offset:4080
	scratch_load_b128 v[28:31], off, off offset:140 ; 16-byte Folded Reload
	v_add_f64 v[164:165], v[18:19], v[14:15]
	v_mul_f64 v[169:170], v[164:165], s[18:19]
	v_mul_f64 v[213:214], v[164:165], s[2:3]
	;; [unrolled: 1-line block ×5, first 2 shown]
	s_delay_alu instid0(VALU_DEP_1) | instskip(SKIP_2) | instid1(VALU_DEP_1)
	v_fma_f64 v[74:75], v[166:167], s[40:41], v[72:73]
	s_waitcnt vmcnt(0) lgkmcnt(1)
	v_mul_f64 v[22:23], v[30:31], v[2:3]
	v_fma_f64 v[44:45], v[28:29], v[0:1], v[22:23]
	v_mul_f64 v[0:1], v[30:31], v[0:1]
	s_delay_alu instid0(VALU_DEP_1)
	v_fma_f64 v[34:35], v[28:29], v[2:3], -v[0:1]
	ds_load_b128 v[0:3], v255 offset:7344
	ds_load_b128 v[112:115], v255 offset:6528
	scratch_load_b128 v[28:31], off, off offset:156 ; 16-byte Folded Reload
	s_waitcnt vmcnt(0) lgkmcnt(1)
	v_mul_f64 v[22:23], v[30:31], v[2:3]
	s_delay_alu instid0(VALU_DEP_1) | instskip(SKIP_1) | instid1(VALU_DEP_2)
	v_fma_f64 v[22:23], v[28:29], v[0:1], v[22:23]
	v_mul_f64 v[0:1], v[30:31], v[0:1]
	v_add_f64 v[173:174], v[44:45], v[22:23]
	s_delay_alu instid0(VALU_DEP_2) | instskip(SKIP_2) | instid1(VALU_DEP_3)
	v_fma_f64 v[32:33], v[28:29], v[2:3], -v[0:1]
	v_mul_f64 v[0:1], v[58:59], v[54:55]
	v_add_f64 v[179:180], v[44:45], -v[22:23]
	v_add_f64 v[171:172], v[34:35], -v[32:33]
	s_delay_alu instid0(VALU_DEP_3) | instskip(SKIP_2) | instid1(VALU_DEP_4)
	v_fma_f64 v[46:47], v[56:57], v[52:53], v[0:1]
	v_mul_f64 v[0:1], v[58:59], v[52:53]
	v_add_f64 v[177:178], v[34:35], v[32:33]
	v_mul_f64 v[175:176], v[171:172], s[24:25]
	v_mul_f64 v[215:216], v[171:172], s[26:27]
	s_delay_alu instid0(VALU_DEP_4)
	v_fma_f64 v[52:53], v[56:57], v[54:55], -v[0:1]
	s_waitcnt lgkmcnt(0)
	v_mul_f64 v[0:1], v[62:63], v[114:115]
	v_mul_f64 v[181:182], v[177:178], s[10:11]
	;; [unrolled: 1-line block ×7, first 2 shown]
	v_fma_f64 v[36:37], v[60:61], v[112:113], v[0:1]
	v_mul_f64 v[0:1], v[62:63], v[112:113]
	v_add_f64 v[62:63], v[24:25], v[6:7]
	s_delay_alu instid0(VALU_DEP_4) | instskip(NEXT) | instid1(VALU_DEP_4)
	v_fma_f64 v[78:79], v[179:180], s[28:29], v[76:77]
	v_add_f64 v[185:186], v[46:47], v[36:37]
	s_delay_alu instid0(VALU_DEP_4)
	v_fma_f64 v[38:39], v[60:61], v[114:115], -v[0:1]
	ds_load_b128 v[0:3], v255 offset:4896
	ds_load_b128 v[56:59], v255 offset:5712
	scratch_load_b128 v[28:31], off, off offset:172 ; 16-byte Folded Reload
	v_add_f64 v[191:192], v[46:47], -v[36:37]
	v_add_f64 v[183:184], v[52:53], -v[38:39]
	v_add_f64 v[189:190], v[52:53], v[38:39]
	s_delay_alu instid0(VALU_DEP_2) | instskip(NEXT) | instid1(VALU_DEP_2)
	v_mul_f64 v[187:188], v[183:184], s[38:39]
	v_mul_f64 v[193:194], v[189:190], s[8:9]
	;; [unrolled: 1-line block ×9, first 2 shown]
	s_delay_alu instid0(VALU_DEP_3) | instskip(NEXT) | instid1(VALU_DEP_3)
	v_fma_f64 v[102:103], v[191:192], s[28:29], v[100:101]
	v_fma_f64 v[98:99], v[185:186], s[2:3], v[96:97]
	s_delay_alu instid0(VALU_DEP_3) | instskip(SKIP_2) | instid1(VALU_DEP_1)
	v_fma_f64 v[82:83], v[191:192], s[46:47], v[80:81]
	s_waitcnt vmcnt(0) lgkmcnt(1)
	v_mul_f64 v[40:41], v[30:31], v[2:3]
	v_fma_f64 v[54:55], v[28:29], v[0:1], v[40:41]
	v_mul_f64 v[0:1], v[30:31], v[0:1]
	s_delay_alu instid0(VALU_DEP_1)
	v_fma_f64 v[40:41], v[28:29], v[2:3], -v[0:1]
	scratch_load_b128 v[28:31], off, off offset:204 ; 16-byte Folded Reload
	s_waitcnt vmcnt(0) lgkmcnt(0)
	s_barrier
	buffer_gl0_inv
	v_mul_f64 v[0:1], v[30:31], v[58:59]
	s_delay_alu instid0(VALU_DEP_1) | instskip(SKIP_1) | instid1(VALU_DEP_2)
	v_fma_f64 v[42:43], v[28:29], v[56:57], v[0:1]
	v_mul_f64 v[0:1], v[30:31], v[56:57]
	v_add_f64 v[197:198], v[54:55], v[42:43]
	s_delay_alu instid0(VALU_DEP_2) | instskip(SKIP_3) | instid1(VALU_DEP_4)
	v_fma_f64 v[48:49], v[28:29], v[58:59], -v[0:1]
	v_add_f64 v[0:1], v[26:27], -v[4:5]
	v_add_f64 v[203:204], v[54:55], -v[42:43]
	v_mul_f64 v[28:29], v[177:178], s[18:19]
	v_add_f64 v[195:196], v[40:41], -v[48:49]
	s_delay_alu instid0(VALU_DEP_4)
	v_mul_f64 v[50:51], v[0:1], s[34:35]
	v_mul_f64 v[2:3], v[0:1], s[46:47]
	;; [unrolled: 1-line block ×6, first 2 shown]
	v_add_f64 v[201:202], v[40:41], v[48:49]
	v_fma_f64 v[30:31], v[179:180], s[36:37], v[28:29]
	v_fma_f64 v[28:29], v[179:180], s[44:45], v[28:29]
	v_mul_f64 v[199:200], v[195:196], s[28:29]
	v_fma_f64 v[112:113], v[62:63], s[16:17], v[50:51]
	v_fma_f64 v[114:115], v[62:63], s[16:17], -v[50:51]
	v_add_f64 v[50:51], v[26:27], v[4:5]
	v_fma_f64 v[106:107], v[62:63], s[20:21], v[2:3]
	v_fma_f64 v[2:3], v[62:63], s[20:21], -v[2:3]
	v_fma_f64 v[116:117], v[62:63], s[18:19], v[56:57]
	v_fma_f64 v[118:119], v[62:63], s[18:19], -v[56:57]
	;; [unrolled: 2-line block ×5, first 2 shown]
	v_mul_f64 v[205:206], v[201:202], s[2:3]
	v_mul_f64 v[223:224], v[195:196], s[42:43]
	;; [unrolled: 1-line block ×10, first 2 shown]
	v_add_f64 v[2:3], v[108:109], v[2:3]
	v_add_f64 v[126:127], v[108:109], v[126:127]
	;; [unrolled: 1-line block ×3, first 2 shown]
	v_fma_f64 v[134:135], v[122:123], s[46:47], v[56:57]
	v_fma_f64 v[136:137], v[122:123], s[42:43], v[56:57]
	;; [unrolled: 1-line block ×12, first 2 shown]
	v_add_f64 v[50:51], v[108:109], v[24:25]
	v_add_f64 v[56:57], v[110:111], v[26:27]
	;; [unrolled: 1-line block ×6, first 2 shown]
	v_add_f64 v[112:113], v[20:21], -v[10:11]
	v_mul_f64 v[114:115], v[162:163], s[16:17]
	v_add_f64 v[24:25], v[110:111], v[134:135]
	v_add_f64 v[60:61], v[110:111], v[136:137]
	;; [unrolled: 1-line block ×18, first 2 shown]
	v_mul_f64 v[110:111], v[160:161], s[34:35]
	v_add_f64 v[116:117], v[16:17], v[12:13]
	v_fma_f64 v[66:67], v[112:113], s[44:45], v[64:65]
	v_add_f64 v[20:21], v[50:51], v[20:21]
	s_delay_alu instid0(VALU_DEP_4) | instskip(NEXT) | instid1(VALU_DEP_3)
	v_fma_f64 v[0:1], v[108:109], s[16:17], -v[110:111]
	v_add_f64 v[66:67], v[66:67], v[146:147]
	s_delay_alu instid0(VALU_DEP_3) | instskip(NEXT) | instid1(VALU_DEP_3)
	v_add_f64 v[16:17], v[20:21], v[16:17]
	v_add_f64 v[0:1], v[0:1], v[2:3]
	v_fma_f64 v[2:3], v[112:113], s[34:35], v[114:115]
	s_delay_alu instid0(VALU_DEP_4) | instskip(SKIP_2) | instid1(VALU_DEP_4)
	v_add_f64 v[66:67], v[74:75], v[66:67]
	v_mul_f64 v[74:75], v[171:172], s[22:23]
	v_add_f64 v[16:17], v[16:17], v[44:45]
	v_add_f64 v[2:3], v[2:3], v[24:25]
	v_add_f64 v[24:25], v[18:19], -v[14:15]
	v_add_f64 v[66:67], v[78:79], v[66:67]
	v_mul_f64 v[78:79], v[183:184], s[42:43]
	v_add_f64 v[16:17], v[16:17], v[46:47]
	s_delay_alu instid0(VALU_DEP_4)
	v_mul_f64 v[118:119], v[24:25], s[44:45]
	v_mul_f64 v[211:212], v[24:25], s[28:29]
	;; [unrolled: 1-line block ×5, first 2 shown]
	v_add_f64 v[66:67], v[82:83], v[66:67]
	v_mul_f64 v[82:83], v[195:196], s[24:25]
	v_mul_f64 v[24:25], v[24:25], s[38:39]
	v_add_f64 v[16:17], v[16:17], v[54:55]
	v_fma_f64 v[128:129], v[116:117], s[18:19], -v[118:119]
	v_fma_f64 v[130:131], v[116:117], s[2:3], v[211:212]
	v_fma_f64 v[70:71], v[116:117], s[16:17], v[68:69]
	s_delay_alu instid0(VALU_DEP_4) | instskip(NEXT) | instid1(VALU_DEP_4)
	v_add_f64 v[16:17], v[16:17], v[42:43]
	v_add_f64 v[0:1], v[128:129], v[0:1]
	v_fma_f64 v[128:129], v[166:167], s[44:45], v[169:170]
	s_delay_alu instid0(VALU_DEP_3) | instskip(NEXT) | instid1(VALU_DEP_2)
	v_add_f64 v[16:17], v[16:17], v[36:37]
	v_add_f64 v[2:3], v[128:129], v[2:3]
	v_fma_f64 v[128:129], v[173:174], s[10:11], -v[175:176]
	s_delay_alu instid0(VALU_DEP_3) | instskip(NEXT) | instid1(VALU_DEP_2)
	v_add_f64 v[16:17], v[16:17], v[22:23]
	v_add_f64 v[0:1], v[128:129], v[0:1]
	v_fma_f64 v[128:129], v[179:180], s[24:25], v[181:182]
	s_delay_alu instid0(VALU_DEP_3) | instskip(NEXT) | instid1(VALU_DEP_2)
	v_add_f64 v[12:13], v[16:17], v[12:13]
	v_add_f64 v[2:3], v[128:129], v[2:3]
	v_fma_f64 v[128:129], v[185:186], s[8:9], -v[187:188]
	s_delay_alu instid0(VALU_DEP_3) | instskip(NEXT) | instid1(VALU_DEP_2)
	v_add_f64 v[10:11], v[12:13], v[10:11]
	v_add_f64 v[0:1], v[128:129], v[0:1]
	v_fma_f64 v[128:129], v[191:192], s[38:39], v[193:194]
	s_delay_alu instid0(VALU_DEP_3) | instskip(NEXT) | instid1(VALU_DEP_2)
	v_add_f64 v[6:7], v[10:11], v[6:7]
	v_add_f64 v[2:3], v[128:129], v[2:3]
	v_fma_f64 v[128:129], v[197:198], s[2:3], -v[199:200]
	s_delay_alu instid0(VALU_DEP_1) | instskip(SKIP_1) | instid1(VALU_DEP_1)
	v_add_f64 v[0:1], v[128:129], v[0:1]
	v_fma_f64 v[128:129], v[203:204], s[28:29], v[205:206]
	v_add_f64 v[2:3], v[128:129], v[2:3]
	v_fma_f64 v[128:129], v[108:109], s[10:11], v[207:208]
	s_delay_alu instid0(VALU_DEP_1) | instskip(SKIP_1) | instid1(VALU_DEP_2)
	v_add_f64 v[26:27], v[128:129], v[26:27]
	v_fma_f64 v[128:129], v[112:113], s[30:31], v[209:210]
	v_add_f64 v[26:27], v[130:131], v[26:27]
	s_delay_alu instid0(VALU_DEP_2) | instskip(SKIP_2) | instid1(VALU_DEP_2)
	v_add_f64 v[128:129], v[128:129], v[134:135]
	v_fma_f64 v[130:131], v[166:167], s[22:23], v[213:214]
	v_fma_f64 v[134:135], v[112:113], s[22:23], v[227:228]
	v_add_f64 v[128:129], v[130:131], v[128:129]
	v_fma_f64 v[130:131], v[173:174], s[8:9], v[215:216]
	s_delay_alu instid0(VALU_DEP_3) | instskip(SKIP_1) | instid1(VALU_DEP_3)
	v_add_f64 v[134:135], v[134:135], v[138:139]
	v_fma_f64 v[138:139], v[112:113], s[38:39], v[247:248]
	v_add_f64 v[26:27], v[130:131], v[26:27]
	v_fma_f64 v[130:131], v[179:180], s[38:39], v[217:218]
	s_delay_alu instid0(VALU_DEP_3) | instskip(NEXT) | instid1(VALU_DEP_2)
	v_add_f64 v[138:139], v[138:139], v[142:143]
	v_add_f64 v[128:129], v[130:131], v[128:129]
	v_fma_f64 v[130:131], v[185:186], s[18:19], v[219:220]
	s_delay_alu instid0(VALU_DEP_1) | instskip(SKIP_1) | instid1(VALU_DEP_1)
	v_add_f64 v[26:27], v[130:131], v[26:27]
	v_fma_f64 v[130:131], v[191:192], s[44:45], v[221:222]
	v_add_f64 v[130:131], v[130:131], v[128:129]
	v_fma_f64 v[128:129], v[197:198], s[20:21], v[223:224]
	s_delay_alu instid0(VALU_DEP_1) | instskip(SKIP_1) | instid1(VALU_DEP_1)
	v_add_f64 v[128:129], v[128:129], v[26:27]
	v_mul_f64 v[26:27], v[201:202], s[20:21]
	v_fma_f64 v[132:133], v[203:204], s[46:47], v[26:27]
	v_fma_f64 v[26:27], v[203:204], s[42:43], v[26:27]
	s_delay_alu instid0(VALU_DEP_2) | instskip(SKIP_1) | instid1(VALU_DEP_1)
	v_add_f64 v[130:131], v[132:133], v[130:131]
	v_fma_f64 v[132:133], v[108:109], s[2:3], v[225:226]
	v_add_f64 v[132:133], v[132:133], v[136:137]
	v_fma_f64 v[136:137], v[116:117], s[10:11], v[229:230]
	s_delay_alu instid0(VALU_DEP_1) | instskip(SKIP_1) | instid1(VALU_DEP_1)
	v_add_f64 v[132:133], v[136:137], v[132:133]
	v_fma_f64 v[136:137], v[166:167], s[24:25], v[231:232]
	v_add_f64 v[134:135], v[136:137], v[134:135]
	v_fma_f64 v[136:137], v[173:174], s[20:21], v[233:234]
	s_delay_alu instid0(VALU_DEP_1) | instskip(SKIP_1) | instid1(VALU_DEP_1)
	v_add_f64 v[132:133], v[136:137], v[132:133]
	v_fma_f64 v[136:137], v[179:180], s[46:47], v[235:236]
	v_add_f64 v[134:135], v[136:137], v[134:135]
	v_fma_f64 v[136:137], v[185:186], s[16:17], v[237:238]
	s_delay_alu instid0(VALU_DEP_1) | instskip(SKIP_1) | instid1(VALU_DEP_1)
	v_add_f64 v[132:133], v[136:137], v[132:133]
	v_fma_f64 v[136:137], v[191:192], s[40:41], v[239:240]
	v_add_f64 v[134:135], v[136:137], v[134:135]
	v_fma_f64 v[136:137], v[197:198], s[8:9], v[241:242]
	s_delay_alu instid0(VALU_DEP_1) | instskip(SKIP_1) | instid1(VALU_DEP_1)
	v_add_f64 v[132:133], v[136:137], v[132:133]
	v_fma_f64 v[136:137], v[203:204], s[26:27], v[243:244]
	v_add_f64 v[134:135], v[136:137], v[134:135]
	v_fma_f64 v[136:137], v[108:109], s[8:9], v[245:246]
	s_delay_alu instid0(VALU_DEP_1) | instskip(SKIP_1) | instid1(VALU_DEP_1)
	v_add_f64 v[136:137], v[136:137], v[140:141]
	v_fma_f64 v[140:141], v[116:117], s[20:21], v[249:250]
	v_add_f64 v[136:137], v[140:141], v[136:137]
	v_fma_f64 v[140:141], v[166:167], s[46:47], v[251:252]
	s_delay_alu instid0(VALU_DEP_1) | instskip(SKIP_1) | instid1(VALU_DEP_2)
	v_add_f64 v[138:139], v[140:141], v[138:139]
	v_fma_f64 v[140:141], v[173:174], s[18:19], v[253:254]
	v_add_f64 v[30:31], v[30:31], v[138:139]
	s_delay_alu instid0(VALU_DEP_2) | instskip(NEXT) | instid1(VALU_DEP_2)
	v_add_f64 v[136:137], v[140:141], v[136:137]
	v_add_f64 v[30:31], v[102:103], v[30:31]
	v_mul_f64 v[102:103], v[195:196], s[40:41]
	s_delay_alu instid0(VALU_DEP_3) | instskip(NEXT) | instid1(VALU_DEP_2)
	v_add_f64 v[98:99], v[98:99], v[136:137]
	v_fma_f64 v[136:137], v[197:198], s[16:17], v[102:103]
	s_delay_alu instid0(VALU_DEP_1) | instskip(SKIP_1) | instid1(VALU_DEP_1)
	v_add_f64 v[136:137], v[136:137], v[98:99]
	v_mul_f64 v[98:99], v[201:202], s[16:17]
	v_fma_f64 v[138:139], v[203:204], s[34:35], v[98:99]
	s_delay_alu instid0(VALU_DEP_1) | instskip(SKIP_1) | instid1(VALU_DEP_1)
	v_add_f64 v[138:139], v[138:139], v[30:31]
	v_mul_f64 v[30:31], v[160:161], s[36:37]
	v_fma_f64 v[140:141], v[108:109], s[18:19], v[30:31]
	s_delay_alu instid0(VALU_DEP_1) | instskip(NEXT) | instid1(VALU_DEP_1)
	v_add_f64 v[140:141], v[140:141], v[144:145]
	v_add_f64 v[70:71], v[70:71], v[140:141]
	v_fma_f64 v[140:141], v[173:174], s[2:3], v[74:75]
	s_delay_alu instid0(VALU_DEP_1) | instskip(SKIP_1) | instid1(VALU_DEP_1)
	v_add_f64 v[70:71], v[140:141], v[70:71]
	v_fma_f64 v[140:141], v[185:186], s[20:21], v[78:79]
	v_add_f64 v[70:71], v[140:141], v[70:71]
	v_fma_f64 v[140:141], v[197:198], s[10:11], v[82:83]
	s_delay_alu instid0(VALU_DEP_1) | instskip(SKIP_1) | instid1(VALU_DEP_1)
	v_add_f64 v[140:141], v[140:141], v[70:71]
	v_mul_f64 v[70:71], v[201:202], s[10:11]
	v_fma_f64 v[142:143], v[203:204], s[30:31], v[70:71]
	s_delay_alu instid0(VALU_DEP_1) | instskip(SKIP_1) | instid1(VALU_DEP_1)
	v_add_f64 v[142:143], v[142:143], v[66:67]
	v_mul_f64 v[66:67], v[160:161], s[42:43]
	v_fma_f64 v[144:145], v[108:109], s[20:21], v[66:67]
	v_fma_f64 v[66:67], v[108:109], s[20:21], -v[66:67]
	s_delay_alu instid0(VALU_DEP_2) | instskip(SKIP_1) | instid1(VALU_DEP_3)
	v_add_f64 v[144:145], v[144:145], v[148:149]
	v_mul_f64 v[148:149], v[162:163], s[20:21]
	v_add_f64 v[66:67], v[66:67], v[154:155]
	s_delay_alu instid0(VALU_DEP_2) | instskip(SKIP_1) | instid1(VALU_DEP_2)
	v_fma_f64 v[146:147], v[112:113], s[46:47], v[148:149]
	v_fma_f64 v[148:149], v[112:113], s[42:43], v[148:149]
	v_add_f64 v[146:147], v[146:147], v[150:151]
	v_fma_f64 v[150:151], v[116:117], s[8:9], v[24:25]
	v_fma_f64 v[24:25], v[116:117], s[8:9], -v[24:25]
	s_delay_alu instid0(VALU_DEP_4) | instskip(NEXT) | instid1(VALU_DEP_3)
	v_add_f64 v[148:149], v[148:149], v[156:157]
	v_add_f64 v[144:145], v[150:151], v[144:145]
	v_mul_f64 v[150:151], v[164:165], s[8:9]
	s_delay_alu instid0(VALU_DEP_4) | instskip(NEXT) | instid1(VALU_DEP_2)
	v_add_f64 v[24:25], v[24:25], v[66:67]
	v_fma_f64 v[160:161], v[166:167], s[26:27], v[150:151]
	v_fma_f64 v[66:67], v[166:167], s[38:39], v[150:151]
	s_delay_alu instid0(VALU_DEP_2) | instskip(SKIP_1) | instid1(VALU_DEP_3)
	v_add_f64 v[146:147], v[160:161], v[146:147]
	v_mul_f64 v[160:161], v[171:172], s[40:41]
	v_add_f64 v[66:67], v[66:67], v[148:149]
	s_delay_alu instid0(VALU_DEP_2) | instskip(SKIP_1) | instid1(VALU_DEP_2)
	v_fma_f64 v[162:163], v[173:174], s[16:17], v[160:161]
	v_fma_f64 v[148:149], v[173:174], s[16:17], -v[160:161]
	v_add_f64 v[144:145], v[162:163], v[144:145]
	v_mul_f64 v[162:163], v[177:178], s[16:17]
	s_delay_alu instid0(VALU_DEP_3) | instskip(NEXT) | instid1(VALU_DEP_2)
	v_add_f64 v[24:25], v[148:149], v[24:25]
	v_fma_f64 v[164:165], v[179:180], s[34:35], v[162:163]
	v_fma_f64 v[148:149], v[179:180], s[40:41], v[162:163]
	s_delay_alu instid0(VALU_DEP_2) | instskip(SKIP_1) | instid1(VALU_DEP_3)
	v_add_f64 v[146:147], v[164:165], v[146:147]
	v_mul_f64 v[164:165], v[183:184], s[24:25]
	v_add_f64 v[66:67], v[148:149], v[66:67]
	v_mul_f64 v[183:184], v[201:202], s[18:19]
	s_delay_alu instid0(VALU_DEP_3) | instskip(SKIP_1) | instid1(VALU_DEP_3)
	v_fma_f64 v[171:172], v[185:186], s[10:11], v[164:165]
	v_fma_f64 v[148:149], v[185:186], s[10:11], -v[164:165]
	v_fma_f64 v[150:151], v[203:204], s[36:37], v[183:184]
	s_delay_alu instid0(VALU_DEP_3) | instskip(SKIP_1) | instid1(VALU_DEP_4)
	v_add_f64 v[144:145], v[171:172], v[144:145]
	v_mul_f64 v[171:172], v[189:190], s[10:11]
	v_add_f64 v[24:25], v[148:149], v[24:25]
	s_delay_alu instid0(VALU_DEP_2) | instskip(SKIP_1) | instid1(VALU_DEP_2)
	v_fma_f64 v[177:178], v[191:192], s[30:31], v[171:172]
	v_fma_f64 v[148:149], v[191:192], s[24:25], v[171:172]
	v_add_f64 v[146:147], v[177:178], v[146:147]
	v_mul_f64 v[177:178], v[195:196], s[36:37]
	s_delay_alu instid0(VALU_DEP_3) | instskip(NEXT) | instid1(VALU_DEP_2)
	v_add_f64 v[66:67], v[148:149], v[66:67]
	v_fma_f64 v[148:149], v[197:198], s[18:19], -v[177:178]
	s_delay_alu instid0(VALU_DEP_2) | instskip(SKIP_2) | instid1(VALU_DEP_4)
	v_add_f64 v[150:151], v[150:151], v[66:67]
	v_fma_f64 v[66:67], v[203:204], s[24:25], v[70:71]
	v_fma_f64 v[189:190], v[197:198], s[18:19], v[177:178]
	v_add_f64 v[148:149], v[148:149], v[24:25]
	v_fma_f64 v[24:25], v[108:109], s[18:19], -v[30:31]
	v_fma_f64 v[30:31], v[112:113], s[36:37], v[64:65]
	v_fma_f64 v[64:65], v[116:117], s[16:17], -v[68:69]
	v_add_f64 v[144:145], v[189:190], v[144:145]
	v_fma_f64 v[189:190], v[203:204], s[44:45], v[183:184]
	v_add_f64 v[24:25], v[24:25], v[158:159]
	v_add_f64 v[30:31], v[30:31], v[152:153]
	s_delay_alu instid0(VALU_DEP_3) | instskip(NEXT) | instid1(VALU_DEP_3)
	v_add_f64 v[146:147], v[189:190], v[146:147]
	v_add_f64 v[24:25], v[64:65], v[24:25]
	v_fma_f64 v[64:65], v[166:167], s[34:35], v[72:73]
	s_delay_alu instid0(VALU_DEP_1) | instskip(SKIP_1) | instid1(VALU_DEP_1)
	v_add_f64 v[30:31], v[64:65], v[30:31]
	v_fma_f64 v[64:65], v[173:174], s[2:3], -v[74:75]
	v_add_f64 v[24:25], v[64:65], v[24:25]
	v_fma_f64 v[64:65], v[179:180], s[22:23], v[76:77]
	s_delay_alu instid0(VALU_DEP_1) | instskip(SKIP_1) | instid1(VALU_DEP_1)
	v_add_f64 v[30:31], v[64:65], v[30:31]
	v_fma_f64 v[64:65], v[185:186], s[20:21], -v[78:79]
	v_add_f64 v[24:25], v[64:65], v[24:25]
	v_fma_f64 v[64:65], v[191:192], s[42:43], v[80:81]
	s_delay_alu instid0(VALU_DEP_1) | instskip(SKIP_1) | instid1(VALU_DEP_2)
	v_add_f64 v[30:31], v[64:65], v[30:31]
	v_fma_f64 v[64:65], v[197:198], s[10:11], -v[82:83]
	v_add_f64 v[154:155], v[66:67], v[30:31]
	s_delay_alu instid0(VALU_DEP_2) | instskip(SKIP_3) | instid1(VALU_DEP_3)
	v_add_f64 v[152:153], v[64:65], v[24:25]
	v_fma_f64 v[24:25], v[108:109], s[8:9], -v[245:246]
	v_fma_f64 v[30:31], v[112:113], s[26:27], v[247:248]
	v_fma_f64 v[64:65], v[116:117], s[20:21], -v[249:250]
	v_add_f64 v[24:25], v[24:25], v[126:127]
	s_delay_alu instid0(VALU_DEP_3) | instskip(NEXT) | instid1(VALU_DEP_2)
	v_add_f64 v[30:31], v[30:31], v[124:125]
	v_add_f64 v[24:25], v[64:65], v[24:25]
	v_fma_f64 v[64:65], v[166:167], s[42:43], v[251:252]
	s_delay_alu instid0(VALU_DEP_1) | instskip(SKIP_1) | instid1(VALU_DEP_2)
	v_add_f64 v[30:31], v[64:65], v[30:31]
	v_fma_f64 v[64:65], v[173:174], s[18:19], -v[253:254]
	v_add_f64 v[28:29], v[28:29], v[30:31]
	s_delay_alu instid0(VALU_DEP_2) | instskip(SKIP_2) | instid1(VALU_DEP_2)
	v_add_f64 v[24:25], v[64:65], v[24:25]
	v_fma_f64 v[30:31], v[185:186], s[2:3], -v[96:97]
	v_fma_f64 v[64:65], v[203:204], s[40:41], v[98:99]
	v_add_f64 v[24:25], v[30:31], v[24:25]
	v_fma_f64 v[30:31], v[191:192], s[22:23], v[100:101]
	s_delay_alu instid0(VALU_DEP_1) | instskip(SKIP_1) | instid1(VALU_DEP_2)
	v_add_f64 v[28:29], v[30:31], v[28:29]
	v_fma_f64 v[30:31], v[197:198], s[16:17], -v[102:103]
	v_add_f64 v[126:127], v[64:65], v[28:29]
	s_delay_alu instid0(VALU_DEP_2) | instskip(SKIP_4) | instid1(VALU_DEP_4)
	v_add_f64 v[124:125], v[30:31], v[24:25]
	v_fma_f64 v[24:25], v[108:109], s[2:3], -v[225:226]
	v_fma_f64 v[28:29], v[112:113], s[28:29], v[227:228]
	v_fma_f64 v[30:31], v[116:117], s[10:11], -v[229:230]
	v_fma_f64 v[64:65], v[203:204], s[38:39], v[243:244]
	v_add_f64 v[24:25], v[24:25], v[122:123]
	s_delay_alu instid0(VALU_DEP_4) | instskip(NEXT) | instid1(VALU_DEP_2)
	v_add_f64 v[28:29], v[28:29], v[120:121]
	v_add_f64 v[24:25], v[30:31], v[24:25]
	v_fma_f64 v[30:31], v[166:167], s[30:31], v[231:232]
	s_delay_alu instid0(VALU_DEP_1) | instskip(SKIP_1) | instid1(VALU_DEP_1)
	v_add_f64 v[28:29], v[30:31], v[28:29]
	v_fma_f64 v[30:31], v[173:174], s[20:21], -v[233:234]
	v_add_f64 v[24:25], v[30:31], v[24:25]
	v_fma_f64 v[30:31], v[179:180], s[42:43], v[235:236]
	s_delay_alu instid0(VALU_DEP_1) | instskip(SKIP_1) | instid1(VALU_DEP_1)
	v_add_f64 v[28:29], v[30:31], v[28:29]
	v_fma_f64 v[30:31], v[185:186], s[16:17], -v[237:238]
	v_add_f64 v[24:25], v[30:31], v[24:25]
	v_fma_f64 v[30:31], v[191:192], s[34:35], v[239:240]
	s_delay_alu instid0(VALU_DEP_1) | instskip(SKIP_1) | instid1(VALU_DEP_2)
	v_add_f64 v[28:29], v[30:31], v[28:29]
	v_fma_f64 v[30:31], v[197:198], s[8:9], -v[241:242]
	v_add_f64 v[122:123], v[64:65], v[28:29]
	s_delay_alu instid0(VALU_DEP_2) | instskip(SKIP_3) | instid1(VALU_DEP_3)
	v_add_f64 v[120:121], v[30:31], v[24:25]
	v_fma_f64 v[24:25], v[108:109], s[10:11], -v[207:208]
	v_fma_f64 v[28:29], v[112:113], s[24:25], v[209:210]
	v_fma_f64 v[30:31], v[116:117], s[2:3], -v[211:212]
	v_add_f64 v[24:25], v[24:25], v[106:107]
	s_delay_alu instid0(VALU_DEP_3) | instskip(NEXT) | instid1(VALU_DEP_2)
	v_add_f64 v[28:29], v[28:29], v[62:63]
	v_add_f64 v[24:25], v[30:31], v[24:25]
	v_fma_f64 v[30:31], v[166:167], s[28:29], v[213:214]
	s_delay_alu instid0(VALU_DEP_1) | instskip(SKIP_1) | instid1(VALU_DEP_1)
	v_add_f64 v[28:29], v[30:31], v[28:29]
	v_fma_f64 v[30:31], v[173:174], s[8:9], -v[215:216]
	v_add_f64 v[24:25], v[30:31], v[24:25]
	v_fma_f64 v[30:31], v[179:180], s[26:27], v[217:218]
	s_delay_alu instid0(VALU_DEP_1) | instskip(SKIP_1) | instid1(VALU_DEP_1)
	v_add_f64 v[28:29], v[30:31], v[28:29]
	v_fma_f64 v[30:31], v[185:186], s[18:19], -v[219:220]
	v_add_f64 v[24:25], v[30:31], v[24:25]
	v_fma_f64 v[30:31], v[191:192], s[36:37], v[221:222]
	s_delay_alu instid0(VALU_DEP_1) | instskip(SKIP_1) | instid1(VALU_DEP_2)
	v_add_f64 v[28:29], v[30:31], v[28:29]
	v_fma_f64 v[30:31], v[197:198], s[20:21], -v[223:224]
	v_add_f64 v[158:159], v[26:27], v[28:29]
	s_delay_alu instid0(VALU_DEP_2) | instskip(SKIP_4) | instid1(VALU_DEP_4)
	v_add_f64 v[156:157], v[30:31], v[24:25]
	v_fma_f64 v[24:25], v[108:109], s[16:17], v[110:111]
	v_fma_f64 v[26:27], v[112:113], s[40:41], v[114:115]
	;; [unrolled: 1-line block ×4, first 2 shown]
	v_add_f64 v[24:25], v[24:25], v[58:59]
	s_delay_alu instid0(VALU_DEP_4) | instskip(SKIP_1) | instid1(VALU_DEP_3)
	v_add_f64 v[26:27], v[26:27], v[60:61]
	v_fma_f64 v[58:59], v[173:174], s[10:11], v[175:176]
	v_add_f64 v[24:25], v[28:29], v[24:25]
	v_fma_f64 v[28:29], v[179:180], s[30:31], v[181:182]
	s_delay_alu instid0(VALU_DEP_4) | instskip(SKIP_1) | instid1(VALU_DEP_4)
	v_add_f64 v[26:27], v[30:31], v[26:27]
	v_fma_f64 v[30:31], v[185:186], s[8:9], v[187:188]
	v_add_f64 v[24:25], v[58:59], v[24:25]
	v_fma_f64 v[58:59], v[191:192], s[26:27], v[193:194]
	s_delay_alu instid0(VALU_DEP_4) | instskip(SKIP_1) | instid1(VALU_DEP_4)
	v_add_f64 v[26:27], v[28:29], v[26:27]
	v_fma_f64 v[28:29], v[197:198], s[2:3], v[199:200]
	v_add_f64 v[24:25], v[30:31], v[24:25]
	v_fma_f64 v[30:31], v[203:204], s[22:23], v[205:206]
	s_delay_alu instid0(VALU_DEP_4) | instskip(NEXT) | instid1(VALU_DEP_3)
	v_add_f64 v[26:27], v[58:59], v[26:27]
	v_add_f64 v[58:59], v[28:29], v[24:25]
	;; [unrolled: 1-line block ×3, first 2 shown]
	s_delay_alu instid0(VALU_DEP_3) | instskip(NEXT) | instid1(VALU_DEP_2)
	v_add_f64 v[60:61], v[30:31], v[26:27]
	v_add_f64 v[18:19], v[24:25], v[18:19]
	s_delay_alu instid0(VALU_DEP_1) | instskip(NEXT) | instid1(VALU_DEP_1)
	v_add_f64 v[18:19], v[18:19], v[34:35]
	v_add_f64 v[18:19], v[18:19], v[52:53]
	s_delay_alu instid0(VALU_DEP_1) | instskip(NEXT) | instid1(VALU_DEP_1)
	v_add_f64 v[18:19], v[18:19], v[40:41]
	v_add_f64 v[18:19], v[18:19], v[48:49]
	s_delay_alu instid0(VALU_DEP_1) | instskip(NEXT) | instid1(VALU_DEP_1)
	v_add_f64 v[18:19], v[18:19], v[38:39]
	v_add_f64 v[18:19], v[18:19], v[32:33]
	s_delay_alu instid0(VALU_DEP_1) | instskip(NEXT) | instid1(VALU_DEP_1)
	v_add_f64 v[14:15], v[18:19], v[14:15]
	v_add_f64 v[8:9], v[14:15], v[8:9]
	s_delay_alu instid0(VALU_DEP_1)
	v_add_f64 v[8:9], v[8:9], v[4:5]
	ds_store_b128 v168, v[128:131] offset:544
	ds_store_b128 v168, v[132:135] offset:816
	;; [unrolled: 1-line block ×12, first 2 shown]
	ds_store_b128 v168, v[6:9]
	s_waitcnt lgkmcnt(0)
	s_barrier
	buffer_gl0_inv
	ds_load_b128 v[12:15], v255
	ds_load_b128 v[4:7], v255 offset:816
	ds_load_b128 v[44:47], v255 offset:3536
	;; [unrolled: 1-line block ×11, first 2 shown]
	s_and_saveexec_b32 s1, s0
	s_cbranch_execz .LBB0_19
; %bb.18:
	ds_load_b128 v[0:3], v255 offset:3264
	ds_load_b128 v[24:27], v255 offset:6800
	s_waitcnt lgkmcnt(0)
	scratch_store_b128 off, v[24:27], off offset:60 ; 16-byte Folded Spill
	ds_load_b128 v[24:27], v255 offset:10336
	s_waitcnt lgkmcnt(0)
	scratch_store_b128 off, v[24:27], off offset:44 ; 16-byte Folded Spill
.LBB0_19:
	s_or_b32 exec_lo, exec_lo, s1
	s_clause 0x1
	scratch_load_b128 v[102:105], off, off offset:268
	scratch_load_b128 v[98:101], off, off offset:252
	s_waitcnt lgkmcnt(8)
	v_mul_f64 v[60:61], v[94:95], v[22:23]
	v_mul_f64 v[62:63], v[94:95], v[20:21]
	scratch_load_b128 v[94:97], off, off offset:236 ; 16-byte Folded Reload
	s_waitcnt lgkmcnt(3)
	v_mul_f64 v[68:69], v[86:87], v[54:55]
	v_mul_f64 v[70:71], v[86:87], v[52:53]
	s_waitcnt lgkmcnt(2)
	v_mul_f64 v[76:77], v[90:91], v[38:39]
	v_mul_f64 v[78:79], v[90:91], v[36:37]
	s_mov_b32 s2, 0xe8584caa
	s_mov_b32 s3, 0xbfebb67a
	;; [unrolled: 1-line block ×4, first 2 shown]
	v_fma_f64 v[20:21], v[92:93], v[20:21], v[60:61]
	v_fma_f64 v[22:23], v[92:93], v[22:23], -v[62:63]
	s_delay_alu instid0(VALU_DEP_4) | instskip(NEXT) | instid1(VALU_DEP_4)
	v_fma_f64 v[36:37], v[88:89], v[36:37], v[76:77]
	v_fma_f64 v[38:39], v[88:89], v[38:39], -v[78:79]
	s_waitcnt vmcnt(2)
	v_mul_f64 v[24:25], v[104:105], v[46:47]
	v_mul_f64 v[26:27], v[104:105], v[44:45]
	scratch_load_b128 v[104:107], off, off offset:284 ; 16-byte Folded Reload
	s_waitcnt vmcnt(2)
	v_mul_f64 v[28:29], v[100:101], v[50:51]
	v_mul_f64 v[30:31], v[100:101], v[48:49]
	s_waitcnt vmcnt(1) lgkmcnt(1)
	v_mul_f64 v[72:73], v[96:97], v[58:59]
	v_mul_f64 v[74:75], v[96:97], v[56:57]
	v_fma_f64 v[24:25], v[102:103], v[44:45], v[24:25]
	v_fma_f64 v[26:27], v[102:103], v[46:47], -v[26:27]
	v_fma_f64 v[44:45], v[84:85], v[52:53], v[68:69]
	v_fma_f64 v[28:29], v[98:99], v[48:49], v[28:29]
	v_fma_f64 v[30:31], v[98:99], v[50:51], -v[30:31]
	v_fma_f64 v[46:47], v[84:85], v[54:55], -v[70:71]
	v_fma_f64 v[48:49], v[94:95], v[56:57], v[72:73]
	v_fma_f64 v[50:51], v[94:95], v[58:59], -v[74:75]
	v_add_f64 v[72:73], v[4:5], v[20:21]
	v_add_f64 v[74:75], v[6:7], v[22:23]
	;; [unrolled: 1-line block ×6, first 2 shown]
	v_add_f64 v[70:71], v[26:27], -v[30:31]
	v_add_f64 v[60:61], v[44:45], v[48:49]
	v_add_f64 v[62:63], v[46:47], v[50:51]
	;; [unrolled: 1-line block ×4, first 2 shown]
	v_add_f64 v[24:25], v[24:25], -v[28:29]
	v_add_f64 v[46:47], v[46:47], -v[50:51]
	;; [unrolled: 1-line block ×3, first 2 shown]
	v_fma_f64 v[52:53], v[52:53], -0.5, v[12:13]
	v_fma_f64 v[54:55], v[54:55], -0.5, v[14:15]
	v_add_f64 v[12:13], v[76:77], v[48:49]
	v_fma_f64 v[60:61], v[60:61], -0.5, v[16:17]
	v_fma_f64 v[62:63], v[62:63], -0.5, v[18:19]
	v_add_f64 v[14:15], v[78:79], v[50:51]
	s_delay_alu instid0(VALU_DEP_3) | instskip(SKIP_1) | instid1(VALU_DEP_4)
	v_fma_f64 v[44:45], v[46:47], s[2:3], v[60:61]
	v_fma_f64 v[48:49], v[46:47], s[8:9], v[60:61]
	;; [unrolled: 1-line block ×4, first 2 shown]
	s_waitcnt vmcnt(0)
	v_mul_f64 v[64:65], v[106:107], v[34:35]
	v_mul_f64 v[66:67], v[106:107], v[32:33]
	scratch_load_b128 v[106:109], off, off offset:300 ; 16-byte Folded Reload
	v_fma_f64 v[32:33], v[104:105], v[32:33], v[64:65]
	v_fma_f64 v[34:35], v[104:105], v[34:35], -v[66:67]
	s_delay_alu instid0(VALU_DEP_2) | instskip(NEXT) | instid1(VALU_DEP_2)
	v_add_f64 v[56:57], v[20:21], v[32:33]
	v_add_f64 v[58:59], v[22:23], v[34:35]
	v_add_f64 v[84:85], v[22:23], -v[34:35]
	v_add_f64 v[86:87], v[20:21], -v[32:33]
	v_fma_f64 v[20:21], v[70:71], s[2:3], v[52:53]
	v_fma_f64 v[22:23], v[24:25], s[8:9], v[54:55]
	v_fma_f64 v[56:57], v[56:57], -0.5, v[4:5]
	v_fma_f64 v[58:59], v[58:59], -0.5, v[6:7]
	v_add_f64 v[4:5], v[68:69], v[28:29]
	v_add_f64 v[6:7], v[26:27], v[30:31]
	s_waitcnt vmcnt(0) lgkmcnt(0)
	v_mul_f64 v[80:81], v[108:109], v[42:43]
	v_mul_f64 v[82:83], v[108:109], v[40:41]
	s_delay_alu instid0(VALU_DEP_2) | instskip(NEXT) | instid1(VALU_DEP_2)
	v_fma_f64 v[40:41], v[106:107], v[40:41], v[80:81]
	v_fma_f64 v[42:43], v[106:107], v[42:43], -v[82:83]
	v_add_f64 v[80:81], v[8:9], v[36:37]
	v_add_f64 v[82:83], v[10:11], v[38:39]
	s_delay_alu instid0(VALU_DEP_4) | instskip(NEXT) | instid1(VALU_DEP_4)
	v_add_f64 v[64:65], v[36:37], v[40:41]
	v_add_f64 v[66:67], v[38:39], v[42:43]
	v_add_f64 v[90:91], v[38:39], -v[42:43]
	v_add_f64 v[92:93], v[36:37], -v[40:41]
	v_add_f64 v[16:17], v[80:81], v[40:41]
	v_add_f64 v[18:19], v[82:83], v[42:43]
	v_fma_f64 v[36:37], v[84:85], s[2:3], v[56:57]
	v_fma_f64 v[38:39], v[86:87], s[8:9], v[58:59]
	v_fma_f64 v[40:41], v[84:85], s[8:9], v[56:57]
	v_fma_f64 v[42:43], v[86:87], s[2:3], v[58:59]
	v_fma_f64 v[64:65], v[64:65], -0.5, v[8:9]
	v_fma_f64 v[66:67], v[66:67], -0.5, v[10:11]
	v_add_f64 v[8:9], v[72:73], v[32:33]
	v_add_f64 v[10:11], v[74:75], v[34:35]
	v_fma_f64 v[32:33], v[70:71], s[8:9], v[52:53]
	v_fma_f64 v[34:35], v[24:25], s[2:3], v[54:55]
	;; [unrolled: 1-line block ×6, first 2 shown]
	ds_store_b128 v255, v[4:7]
	ds_store_b128 v255, v[8:11] offset:816
	ds_store_b128 v255, v[12:15] offset:1632
	;; [unrolled: 1-line block ×11, first 2 shown]
	s_and_saveexec_b32 s1, s0
	s_cbranch_execz .LBB0_21
; %bb.20:
	s_clause 0x3
	scratch_load_b128 v[16:19], off, off offset:332
	scratch_load_b128 v[24:27], off, off offset:60
	;; [unrolled: 1-line block ×4, first 2 shown]
	s_waitcnt vmcnt(2)
	v_mul_f64 v[4:5], v[18:19], v[24:25]
	s_waitcnt vmcnt(0)
	v_mul_f64 v[6:7], v[14:15], v[20:21]
	v_mul_f64 v[8:9], v[18:19], v[26:27]
	;; [unrolled: 1-line block ×3, first 2 shown]
	s_delay_alu instid0(VALU_DEP_4) | instskip(NEXT) | instid1(VALU_DEP_4)
	v_fma_f64 v[4:5], v[16:17], v[26:27], -v[4:5]
	v_fma_f64 v[6:7], v[12:13], v[22:23], -v[6:7]
	s_delay_alu instid0(VALU_DEP_4) | instskip(NEXT) | instid1(VALU_DEP_4)
	v_fma_f64 v[8:9], v[16:17], v[24:25], v[8:9]
	v_fma_f64 v[10:11], v[12:13], v[20:21], v[10:11]
	s_delay_alu instid0(VALU_DEP_4) | instskip(NEXT) | instid1(VALU_DEP_4)
	v_add_f64 v[18:19], v[2:3], v[4:5]
	v_add_f64 v[12:13], v[4:5], v[6:7]
	v_add_f64 v[4:5], v[4:5], -v[6:7]
	s_delay_alu instid0(VALU_DEP_4)
	v_add_f64 v[14:15], v[8:9], v[10:11]
	v_add_f64 v[16:17], v[8:9], -v[10:11]
	v_add_f64 v[8:9], v[0:1], v[8:9]
	v_fma_f64 v[12:13], v[12:13], -0.5, v[2:3]
	v_add_f64 v[2:3], v[18:19], v[6:7]
	v_fma_f64 v[14:15], v[14:15], -0.5, v[0:1]
	s_delay_alu instid0(VALU_DEP_4) | instskip(NEXT) | instid1(VALU_DEP_4)
	v_add_f64 v[0:1], v[8:9], v[10:11]
	v_fma_f64 v[10:11], v[16:17], s[8:9], v[12:13]
	v_fma_f64 v[6:7], v[16:17], s[2:3], v[12:13]
	s_delay_alu instid0(VALU_DEP_4)
	v_fma_f64 v[8:9], v[4:5], s[2:3], v[14:15]
	v_fma_f64 v[4:5], v[4:5], s[8:9], v[14:15]
	ds_store_b128 v255, v[0:3] offset:3264
	ds_store_b128 v255, v[8:11] offset:6800
	;; [unrolled: 1-line block ×3, first 2 shown]
.LBB0_21:
	s_or_b32 exec_lo, exec_lo, s1
	s_waitcnt lgkmcnt(0)
	s_waitcnt_vscnt null, 0x0
	s_barrier
	buffer_gl0_inv
	s_and_b32 exec_lo, exec_lo, vcc_lo
	s_cbranch_execz .LBB0_23
; %bb.22:
	global_load_b128 v[0:3], v255, s[12:13]
	ds_load_b128 v[4:7], v255
	ds_load_b128 v[8:11], v255 offset:624
	ds_load_b128 v[12:15], v255 offset:9984
	s_mov_b32 s0, 0x18b64019
	s_mov_b32 s1, 0x3f58b640
	s_mul_i32 s2, s5, 0x270
	s_mul_hi_u32 s3, s4, 0x270
	scratch_load_b32 v20, off, off          ; 4-byte Folded Reload
	s_add_i32 s3, s3, s2
	v_add_co_u32 v22, s2, s12, v255
	s_delay_alu instid0(VALU_DEP_1) | instskip(SKIP_3) | instid1(VALU_DEP_2)
	v_add_co_ci_u32_e64 v23, null, s13, 0, s2
	s_waitcnt vmcnt(1) lgkmcnt(2)
	v_mul_f64 v[16:17], v[6:7], v[2:3]
	v_mul_f64 v[2:3], v[4:5], v[2:3]
	v_fma_f64 v[4:5], v[4:5], v[0:1], v[16:17]
	s_delay_alu instid0(VALU_DEP_2)
	v_fma_f64 v[2:3], v[0:1], v[6:7], -v[2:3]
	scratch_load_b64 v[0:1], off, off offset:4 ; 8-byte Folded Reload
	s_waitcnt vmcnt(1)
	v_mad_u64_u32 v[16:17], null, s4, v20, 0
	s_mulk_i32 s4, 0x270
	v_mul_f64 v[2:3], v[2:3], s[0:1]
	s_waitcnt vmcnt(0)
	v_mov_b32_e32 v19, v0
	v_mul_f64 v[0:1], v[4:5], s[0:1]
	s_delay_alu instid0(VALU_DEP_4) | instskip(NEXT) | instid1(VALU_DEP_3)
	v_mov_b32_e32 v5, v17
	v_mad_u64_u32 v[6:7], null, s6, v19, 0
	s_delay_alu instid0(VALU_DEP_1) | instskip(NEXT) | instid1(VALU_DEP_1)
	v_mov_b32_e32 v4, v7
	v_mad_u64_u32 v[17:18], null, s7, v19, v[4:5]
	s_delay_alu instid0(VALU_DEP_3) | instskip(NEXT) | instid1(VALU_DEP_2)
	v_mad_u64_u32 v[18:19], null, s5, v20, v[5:6]
	v_mov_b32_e32 v7, v17
	s_delay_alu instid0(VALU_DEP_2) | instskip(NEXT) | instid1(VALU_DEP_2)
	v_mov_b32_e32 v17, v18
	v_lshlrev_b64 v[4:5], 4, v[6:7]
	s_delay_alu instid0(VALU_DEP_2) | instskip(NEXT) | instid1(VALU_DEP_2)
	v_lshlrev_b64 v[6:7], 4, v[16:17]
	v_add_co_u32 v4, vcc_lo, s14, v4
	s_delay_alu instid0(VALU_DEP_3) | instskip(NEXT) | instid1(VALU_DEP_2)
	v_add_co_ci_u32_e32 v5, vcc_lo, s15, v5, vcc_lo
	v_add_co_u32 v4, vcc_lo, v4, v6
	s_delay_alu instid0(VALU_DEP_2) | instskip(NEXT) | instid1(VALU_DEP_2)
	v_add_co_ci_u32_e32 v5, vcc_lo, v5, v7, vcc_lo
	v_add_co_u32 v16, vcc_lo, v4, s4
	global_store_b128 v[4:5], v[0:3], off
	global_load_b128 v[0:3], v255, s[12:13] offset:624
	v_add_co_ci_u32_e32 v17, vcc_lo, s3, v5, vcc_lo
	s_waitcnt vmcnt(0) lgkmcnt(1)
	v_mul_f64 v[6:7], v[10:11], v[2:3]
	v_mul_f64 v[2:3], v[8:9], v[2:3]
	s_delay_alu instid0(VALU_DEP_2) | instskip(NEXT) | instid1(VALU_DEP_2)
	v_fma_f64 v[6:7], v[8:9], v[0:1], v[6:7]
	v_fma_f64 v[2:3], v[0:1], v[10:11], -v[2:3]
	s_delay_alu instid0(VALU_DEP_2) | instskip(NEXT) | instid1(VALU_DEP_2)
	v_mul_f64 v[0:1], v[6:7], s[0:1]
	v_mul_f64 v[2:3], v[2:3], s[0:1]
	global_store_b128 v[16:17], v[0:3], off
	global_load_b128 v[0:3], v255, s[12:13] offset:1248
	ds_load_b128 v[4:7], v255 offset:1248
	ds_load_b128 v[8:11], v255 offset:1872
	s_waitcnt vmcnt(0) lgkmcnt(1)
	v_mul_f64 v[18:19], v[6:7], v[2:3]
	v_mul_f64 v[2:3], v[4:5], v[2:3]
	s_delay_alu instid0(VALU_DEP_2) | instskip(NEXT) | instid1(VALU_DEP_2)
	v_fma_f64 v[4:5], v[4:5], v[0:1], v[18:19]
	v_fma_f64 v[2:3], v[0:1], v[6:7], -v[2:3]
	s_delay_alu instid0(VALU_DEP_2) | instskip(NEXT) | instid1(VALU_DEP_2)
	v_mul_f64 v[0:1], v[4:5], s[0:1]
	v_mul_f64 v[2:3], v[2:3], s[0:1]
	v_add_co_u32 v4, vcc_lo, v16, s4
	v_add_co_ci_u32_e32 v5, vcc_lo, s3, v17, vcc_lo
	s_delay_alu instid0(VALU_DEP_2) | instskip(NEXT) | instid1(VALU_DEP_2)
	v_add_co_u32 v16, vcc_lo, v4, s4
	v_add_co_ci_u32_e32 v17, vcc_lo, s3, v5, vcc_lo
	global_store_b128 v[4:5], v[0:3], off
	global_load_b128 v[0:3], v255, s[12:13] offset:1872
	s_waitcnt vmcnt(0) lgkmcnt(0)
	v_mul_f64 v[6:7], v[10:11], v[2:3]
	v_mul_f64 v[2:3], v[8:9], v[2:3]
	s_delay_alu instid0(VALU_DEP_2) | instskip(NEXT) | instid1(VALU_DEP_2)
	v_fma_f64 v[6:7], v[8:9], v[0:1], v[6:7]
	v_fma_f64 v[2:3], v[0:1], v[10:11], -v[2:3]
	s_delay_alu instid0(VALU_DEP_2) | instskip(NEXT) | instid1(VALU_DEP_2)
	v_mul_f64 v[0:1], v[6:7], s[0:1]
	v_mul_f64 v[2:3], v[2:3], s[0:1]
	global_store_b128 v[16:17], v[0:3], off
	global_load_b128 v[0:3], v255, s[12:13] offset:2496
	ds_load_b128 v[4:7], v255 offset:2496
	ds_load_b128 v[8:11], v255 offset:3120
	s_waitcnt vmcnt(0) lgkmcnt(1)
	v_mul_f64 v[18:19], v[6:7], v[2:3]
	v_mul_f64 v[2:3], v[4:5], v[2:3]
	s_delay_alu instid0(VALU_DEP_2) | instskip(NEXT) | instid1(VALU_DEP_2)
	v_fma_f64 v[4:5], v[4:5], v[0:1], v[18:19]
	v_fma_f64 v[2:3], v[0:1], v[6:7], -v[2:3]
	s_delay_alu instid0(VALU_DEP_2) | instskip(NEXT) | instid1(VALU_DEP_2)
	v_mul_f64 v[0:1], v[4:5], s[0:1]
	v_mul_f64 v[2:3], v[2:3], s[0:1]
	v_add_co_u32 v4, vcc_lo, v16, s4
	v_add_co_ci_u32_e32 v5, vcc_lo, s3, v17, vcc_lo
	s_delay_alu instid0(VALU_DEP_2) | instskip(NEXT) | instid1(VALU_DEP_2)
	v_add_co_u32 v16, vcc_lo, v4, s4
	v_add_co_ci_u32_e32 v17, vcc_lo, s3, v5, vcc_lo
	global_store_b128 v[4:5], v[0:3], off
	global_load_b128 v[0:3], v255, s[12:13] offset:3120
	s_waitcnt vmcnt(0) lgkmcnt(0)
	v_mul_f64 v[6:7], v[10:11], v[2:3]
	v_mul_f64 v[2:3], v[8:9], v[2:3]
	s_delay_alu instid0(VALU_DEP_2) | instskip(NEXT) | instid1(VALU_DEP_2)
	v_fma_f64 v[6:7], v[8:9], v[0:1], v[6:7]
	v_fma_f64 v[2:3], v[0:1], v[10:11], -v[2:3]
	s_delay_alu instid0(VALU_DEP_2) | instskip(NEXT) | instid1(VALU_DEP_2)
	v_mul_f64 v[0:1], v[6:7], s[0:1]
	v_mul_f64 v[2:3], v[2:3], s[0:1]
	global_store_b128 v[16:17], v[0:3], off
	global_load_b128 v[0:3], v255, s[12:13] offset:3744
	ds_load_b128 v[4:7], v255 offset:3744
	ds_load_b128 v[8:11], v255 offset:4368
	s_waitcnt vmcnt(0) lgkmcnt(1)
	v_mul_f64 v[18:19], v[6:7], v[2:3]
	v_mul_f64 v[2:3], v[4:5], v[2:3]
	s_delay_alu instid0(VALU_DEP_2) | instskip(NEXT) | instid1(VALU_DEP_2)
	v_fma_f64 v[4:5], v[4:5], v[0:1], v[18:19]
	v_fma_f64 v[2:3], v[0:1], v[6:7], -v[2:3]
	s_delay_alu instid0(VALU_DEP_2) | instskip(NEXT) | instid1(VALU_DEP_2)
	v_mul_f64 v[0:1], v[4:5], s[0:1]
	v_mul_f64 v[2:3], v[2:3], s[0:1]
	v_add_co_u32 v4, vcc_lo, v16, s4
	v_add_co_ci_u32_e32 v5, vcc_lo, s3, v17, vcc_lo
	v_add_co_u32 v16, vcc_lo, 0x1000, v22
	v_add_co_ci_u32_e32 v17, vcc_lo, 0, v23, vcc_lo
	s_delay_alu instid0(VALU_DEP_4) | instskip(NEXT) | instid1(VALU_DEP_4)
	v_add_co_u32 v18, vcc_lo, v4, s4
	v_add_co_ci_u32_e32 v19, vcc_lo, s3, v5, vcc_lo
	global_store_b128 v[4:5], v[0:3], off
	global_load_b128 v[0:3], v[16:17], off offset:272
	s_waitcnt vmcnt(0) lgkmcnt(0)
	v_mul_f64 v[6:7], v[10:11], v[2:3]
	v_mul_f64 v[2:3], v[8:9], v[2:3]
	s_delay_alu instid0(VALU_DEP_2) | instskip(NEXT) | instid1(VALU_DEP_2)
	v_fma_f64 v[6:7], v[8:9], v[0:1], v[6:7]
	v_fma_f64 v[2:3], v[0:1], v[10:11], -v[2:3]
	s_delay_alu instid0(VALU_DEP_2) | instskip(NEXT) | instid1(VALU_DEP_2)
	v_mul_f64 v[0:1], v[6:7], s[0:1]
	v_mul_f64 v[2:3], v[2:3], s[0:1]
	global_store_b128 v[18:19], v[0:3], off
	global_load_b128 v[0:3], v[16:17], off offset:896
	ds_load_b128 v[4:7], v255 offset:4992
	ds_load_b128 v[8:11], v255 offset:5616
	s_waitcnt vmcnt(0) lgkmcnt(1)
	v_mul_f64 v[20:21], v[6:7], v[2:3]
	v_mul_f64 v[2:3], v[4:5], v[2:3]
	s_delay_alu instid0(VALU_DEP_2) | instskip(NEXT) | instid1(VALU_DEP_2)
	v_fma_f64 v[4:5], v[4:5], v[0:1], v[20:21]
	v_fma_f64 v[2:3], v[0:1], v[6:7], -v[2:3]
	s_delay_alu instid0(VALU_DEP_2) | instskip(NEXT) | instid1(VALU_DEP_2)
	v_mul_f64 v[0:1], v[4:5], s[0:1]
	v_mul_f64 v[2:3], v[2:3], s[0:1]
	v_add_co_u32 v4, vcc_lo, v18, s4
	v_add_co_ci_u32_e32 v5, vcc_lo, s3, v19, vcc_lo
	s_delay_alu instid0(VALU_DEP_2) | instskip(NEXT) | instid1(VALU_DEP_2)
	v_add_co_u32 v18, vcc_lo, v4, s4
	v_add_co_ci_u32_e32 v19, vcc_lo, s3, v5, vcc_lo
	global_store_b128 v[4:5], v[0:3], off
	global_load_b128 v[0:3], v[16:17], off offset:1520
	s_waitcnt vmcnt(0) lgkmcnt(0)
	v_mul_f64 v[6:7], v[10:11], v[2:3]
	v_mul_f64 v[2:3], v[8:9], v[2:3]
	s_delay_alu instid0(VALU_DEP_2) | instskip(NEXT) | instid1(VALU_DEP_2)
	v_fma_f64 v[6:7], v[8:9], v[0:1], v[6:7]
	v_fma_f64 v[2:3], v[0:1], v[10:11], -v[2:3]
	s_delay_alu instid0(VALU_DEP_2) | instskip(NEXT) | instid1(VALU_DEP_2)
	v_mul_f64 v[0:1], v[6:7], s[0:1]
	v_mul_f64 v[2:3], v[2:3], s[0:1]
	global_store_b128 v[18:19], v[0:3], off
	global_load_b128 v[0:3], v[16:17], off offset:2144
	ds_load_b128 v[4:7], v255 offset:6240
	ds_load_b128 v[8:11], v255 offset:6864
	s_waitcnt vmcnt(0) lgkmcnt(1)
	v_mul_f64 v[20:21], v[6:7], v[2:3]
	v_mul_f64 v[2:3], v[4:5], v[2:3]
	s_delay_alu instid0(VALU_DEP_2) | instskip(NEXT) | instid1(VALU_DEP_2)
	v_fma_f64 v[4:5], v[4:5], v[0:1], v[20:21]
	v_fma_f64 v[2:3], v[0:1], v[6:7], -v[2:3]
	s_delay_alu instid0(VALU_DEP_2) | instskip(NEXT) | instid1(VALU_DEP_2)
	v_mul_f64 v[0:1], v[4:5], s[0:1]
	v_mul_f64 v[2:3], v[2:3], s[0:1]
	v_add_co_u32 v4, vcc_lo, v18, s4
	v_add_co_ci_u32_e32 v5, vcc_lo, s3, v19, vcc_lo
	s_delay_alu instid0(VALU_DEP_2) | instskip(NEXT) | instid1(VALU_DEP_2)
	v_add_co_u32 v18, vcc_lo, v4, s4
	v_add_co_ci_u32_e32 v19, vcc_lo, s3, v5, vcc_lo
	global_store_b128 v[4:5], v[0:3], off
	global_load_b128 v[0:3], v[16:17], off offset:2768
	s_waitcnt vmcnt(0) lgkmcnt(0)
	v_mul_f64 v[6:7], v[10:11], v[2:3]
	v_mul_f64 v[2:3], v[8:9], v[2:3]
	s_delay_alu instid0(VALU_DEP_2) | instskip(NEXT) | instid1(VALU_DEP_2)
	v_fma_f64 v[6:7], v[8:9], v[0:1], v[6:7]
	v_fma_f64 v[2:3], v[0:1], v[10:11], -v[2:3]
	s_delay_alu instid0(VALU_DEP_2) | instskip(NEXT) | instid1(VALU_DEP_2)
	v_mul_f64 v[0:1], v[6:7], s[0:1]
	v_mul_f64 v[2:3], v[2:3], s[0:1]
	global_store_b128 v[18:19], v[0:3], off
	global_load_b128 v[0:3], v[16:17], off offset:3392
	ds_load_b128 v[4:7], v255 offset:7488
	ds_load_b128 v[8:11], v255 offset:8112
	s_waitcnt vmcnt(0) lgkmcnt(1)
	v_mul_f64 v[20:21], v[6:7], v[2:3]
	v_mul_f64 v[2:3], v[4:5], v[2:3]
	s_delay_alu instid0(VALU_DEP_2) | instskip(NEXT) | instid1(VALU_DEP_2)
	v_fma_f64 v[4:5], v[4:5], v[0:1], v[20:21]
	v_fma_f64 v[2:3], v[0:1], v[6:7], -v[2:3]
	s_delay_alu instid0(VALU_DEP_2) | instskip(NEXT) | instid1(VALU_DEP_2)
	v_mul_f64 v[0:1], v[4:5], s[0:1]
	v_mul_f64 v[2:3], v[2:3], s[0:1]
	v_add_co_u32 v4, vcc_lo, v18, s4
	v_add_co_ci_u32_e32 v5, vcc_lo, s3, v19, vcc_lo
	global_store_b128 v[4:5], v[0:3], off
	global_load_b128 v[0:3], v[16:17], off offset:4016
	v_add_co_u32 v16, vcc_lo, v4, s4
	v_add_co_ci_u32_e32 v17, vcc_lo, s3, v5, vcc_lo
	v_add_co_u32 v18, vcc_lo, 0x2000, v22
	v_add_co_ci_u32_e32 v19, vcc_lo, 0, v23, vcc_lo
	s_waitcnt vmcnt(0) lgkmcnt(0)
	v_mul_f64 v[6:7], v[10:11], v[2:3]
	v_mul_f64 v[2:3], v[8:9], v[2:3]
	s_delay_alu instid0(VALU_DEP_2) | instskip(NEXT) | instid1(VALU_DEP_2)
	v_fma_f64 v[6:7], v[8:9], v[0:1], v[6:7]
	v_fma_f64 v[2:3], v[0:1], v[10:11], -v[2:3]
	s_delay_alu instid0(VALU_DEP_2) | instskip(NEXT) | instid1(VALU_DEP_2)
	v_mul_f64 v[0:1], v[6:7], s[0:1]
	v_mul_f64 v[2:3], v[2:3], s[0:1]
	global_store_b128 v[16:17], v[0:3], off
	global_load_b128 v[0:3], v[18:19], off offset:544
	ds_load_b128 v[4:7], v255 offset:8736
	ds_load_b128 v[8:11], v255 offset:9360
	s_waitcnt vmcnt(0) lgkmcnt(1)
	v_mul_f64 v[20:21], v[6:7], v[2:3]
	v_mul_f64 v[2:3], v[4:5], v[2:3]
	s_delay_alu instid0(VALU_DEP_2) | instskip(NEXT) | instid1(VALU_DEP_2)
	v_fma_f64 v[4:5], v[4:5], v[0:1], v[20:21]
	v_fma_f64 v[2:3], v[0:1], v[6:7], -v[2:3]
	s_delay_alu instid0(VALU_DEP_2) | instskip(NEXT) | instid1(VALU_DEP_2)
	v_mul_f64 v[0:1], v[4:5], s[0:1]
	v_mul_f64 v[2:3], v[2:3], s[0:1]
	v_add_co_u32 v4, vcc_lo, v16, s4
	v_add_co_ci_u32_e32 v5, vcc_lo, s3, v17, vcc_lo
	global_store_b128 v[4:5], v[0:3], off
	global_load_b128 v[0:3], v[18:19], off offset:1168
	v_add_co_u32 v4, vcc_lo, v4, s4
	v_add_co_ci_u32_e32 v5, vcc_lo, s3, v5, vcc_lo
	s_waitcnt vmcnt(0) lgkmcnt(0)
	v_mul_f64 v[6:7], v[10:11], v[2:3]
	v_mul_f64 v[2:3], v[8:9], v[2:3]
	s_delay_alu instid0(VALU_DEP_2) | instskip(NEXT) | instid1(VALU_DEP_2)
	v_fma_f64 v[6:7], v[8:9], v[0:1], v[6:7]
	v_fma_f64 v[2:3], v[0:1], v[10:11], -v[2:3]
	s_delay_alu instid0(VALU_DEP_2) | instskip(NEXT) | instid1(VALU_DEP_2)
	v_mul_f64 v[0:1], v[6:7], s[0:1]
	v_mul_f64 v[2:3], v[2:3], s[0:1]
	global_store_b128 v[4:5], v[0:3], off
	global_load_b128 v[0:3], v[18:19], off offset:1792
	v_add_co_u32 v4, vcc_lo, v4, s4
	v_add_co_ci_u32_e32 v5, vcc_lo, s3, v5, vcc_lo
	s_waitcnt vmcnt(0)
	v_mul_f64 v[6:7], v[14:15], v[2:3]
	v_mul_f64 v[2:3], v[12:13], v[2:3]
	s_delay_alu instid0(VALU_DEP_2) | instskip(NEXT) | instid1(VALU_DEP_2)
	v_fma_f64 v[6:7], v[12:13], v[0:1], v[6:7]
	v_fma_f64 v[2:3], v[0:1], v[14:15], -v[2:3]
	s_delay_alu instid0(VALU_DEP_2) | instskip(NEXT) | instid1(VALU_DEP_2)
	v_mul_f64 v[0:1], v[6:7], s[0:1]
	v_mul_f64 v[2:3], v[2:3], s[0:1]
	global_store_b128 v[4:5], v[0:3], off
.LBB0_23:
	s_endpgm
	.section	.rodata,"a",@progbits
	.p2align	6, 0x0
	.amdhsa_kernel bluestein_single_back_len663_dim1_dp_op_CI_CI
		.amdhsa_group_segment_fixed_size 10608
		.amdhsa_private_segment_fixed_size 352
		.amdhsa_kernarg_size 104
		.amdhsa_user_sgpr_count 15
		.amdhsa_user_sgpr_dispatch_ptr 0
		.amdhsa_user_sgpr_queue_ptr 0
		.amdhsa_user_sgpr_kernarg_segment_ptr 1
		.amdhsa_user_sgpr_dispatch_id 0
		.amdhsa_user_sgpr_private_segment_size 0
		.amdhsa_wavefront_size32 1
		.amdhsa_uses_dynamic_stack 0
		.amdhsa_enable_private_segment 1
		.amdhsa_system_sgpr_workgroup_id_x 1
		.amdhsa_system_sgpr_workgroup_id_y 0
		.amdhsa_system_sgpr_workgroup_id_z 0
		.amdhsa_system_sgpr_workgroup_info 0
		.amdhsa_system_vgpr_workitem_id 0
		.amdhsa_next_free_vgpr 256
		.amdhsa_next_free_sgpr 58
		.amdhsa_reserve_vcc 1
		.amdhsa_float_round_mode_32 0
		.amdhsa_float_round_mode_16_64 0
		.amdhsa_float_denorm_mode_32 3
		.amdhsa_float_denorm_mode_16_64 3
		.amdhsa_dx10_clamp 1
		.amdhsa_ieee_mode 1
		.amdhsa_fp16_overflow 0
		.amdhsa_workgroup_processor_mode 1
		.amdhsa_memory_ordered 1
		.amdhsa_forward_progress 0
		.amdhsa_shared_vgpr_count 0
		.amdhsa_exception_fp_ieee_invalid_op 0
		.amdhsa_exception_fp_denorm_src 0
		.amdhsa_exception_fp_ieee_div_zero 0
		.amdhsa_exception_fp_ieee_overflow 0
		.amdhsa_exception_fp_ieee_underflow 0
		.amdhsa_exception_fp_ieee_inexact 0
		.amdhsa_exception_int_div_zero 0
	.end_amdhsa_kernel
	.text
.Lfunc_end0:
	.size	bluestein_single_back_len663_dim1_dp_op_CI_CI, .Lfunc_end0-bluestein_single_back_len663_dim1_dp_op_CI_CI
                                        ; -- End function
	.section	.AMDGPU.csdata,"",@progbits
; Kernel info:
; codeLenInByte = 32228
; NumSgprs: 60
; NumVgprs: 256
; ScratchSize: 352
; MemoryBound: 0
; FloatMode: 240
; IeeeMode: 1
; LDSByteSize: 10608 bytes/workgroup (compile time only)
; SGPRBlocks: 7
; VGPRBlocks: 31
; NumSGPRsForWavesPerEU: 60
; NumVGPRsForWavesPerEU: 256
; Occupancy: 5
; WaveLimiterHint : 1
; COMPUTE_PGM_RSRC2:SCRATCH_EN: 1
; COMPUTE_PGM_RSRC2:USER_SGPR: 15
; COMPUTE_PGM_RSRC2:TRAP_HANDLER: 0
; COMPUTE_PGM_RSRC2:TGID_X_EN: 1
; COMPUTE_PGM_RSRC2:TGID_Y_EN: 0
; COMPUTE_PGM_RSRC2:TGID_Z_EN: 0
; COMPUTE_PGM_RSRC2:TIDIG_COMP_CNT: 0
	.text
	.p2alignl 7, 3214868480
	.fill 96, 4, 3214868480
	.type	__hip_cuid_d98b75ab9ade01c,@object ; @__hip_cuid_d98b75ab9ade01c
	.section	.bss,"aw",@nobits
	.globl	__hip_cuid_d98b75ab9ade01c
__hip_cuid_d98b75ab9ade01c:
	.byte	0                               ; 0x0
	.size	__hip_cuid_d98b75ab9ade01c, 1

	.ident	"AMD clang version 19.0.0git (https://github.com/RadeonOpenCompute/llvm-project roc-6.4.0 25133 c7fe45cf4b819c5991fe208aaa96edf142730f1d)"
	.section	".note.GNU-stack","",@progbits
	.addrsig
	.addrsig_sym __hip_cuid_d98b75ab9ade01c
	.amdgpu_metadata
---
amdhsa.kernels:
  - .args:
      - .actual_access:  read_only
        .address_space:  global
        .offset:         0
        .size:           8
        .value_kind:     global_buffer
      - .actual_access:  read_only
        .address_space:  global
        .offset:         8
        .size:           8
        .value_kind:     global_buffer
      - .actual_access:  read_only
        .address_space:  global
        .offset:         16
        .size:           8
        .value_kind:     global_buffer
      - .actual_access:  read_only
        .address_space:  global
        .offset:         24
        .size:           8
        .value_kind:     global_buffer
      - .actual_access:  read_only
        .address_space:  global
        .offset:         32
        .size:           8
        .value_kind:     global_buffer
      - .offset:         40
        .size:           8
        .value_kind:     by_value
      - .address_space:  global
        .offset:         48
        .size:           8
        .value_kind:     global_buffer
      - .address_space:  global
        .offset:         56
        .size:           8
        .value_kind:     global_buffer
      - .address_space:  global
        .offset:         64
        .size:           8
        .value_kind:     global_buffer
      - .address_space:  global
        .offset:         72
        .size:           8
        .value_kind:     global_buffer
      - .offset:         80
        .size:           4
        .value_kind:     by_value
      - .address_space:  global
        .offset:         88
        .size:           8
        .value_kind:     global_buffer
      - .address_space:  global
        .offset:         96
        .size:           8
        .value_kind:     global_buffer
    .group_segment_fixed_size: 10608
    .kernarg_segment_align: 8
    .kernarg_segment_size: 104
    .language:       OpenCL C
    .language_version:
      - 2
      - 0
    .max_flat_workgroup_size: 51
    .name:           bluestein_single_back_len663_dim1_dp_op_CI_CI
    .private_segment_fixed_size: 352
    .sgpr_count:     60
    .sgpr_spill_count: 0
    .symbol:         bluestein_single_back_len663_dim1_dp_op_CI_CI.kd
    .uniform_work_group_size: 1
    .uses_dynamic_stack: false
    .vgpr_count:     256
    .vgpr_spill_count: 129
    .wavefront_size: 32
    .workgroup_processor_mode: 1
amdhsa.target:   amdgcn-amd-amdhsa--gfx1100
amdhsa.version:
  - 1
  - 2
...

	.end_amdgpu_metadata
